;; amdgpu-corpus repo=ROCm/rocFFT kind=compiled arch=gfx1030 opt=O3
	.text
	.amdgcn_target "amdgcn-amd-amdhsa--gfx1030"
	.amdhsa_code_object_version 6
	.protected	fft_rtc_back_len1092_factors_2_2_13_7_3_wgs_52_tpt_52_halfLds_dp_ip_CI_unitstride_sbrr_dirReg ; -- Begin function fft_rtc_back_len1092_factors_2_2_13_7_3_wgs_52_tpt_52_halfLds_dp_ip_CI_unitstride_sbrr_dirReg
	.globl	fft_rtc_back_len1092_factors_2_2_13_7_3_wgs_52_tpt_52_halfLds_dp_ip_CI_unitstride_sbrr_dirReg
	.p2align	8
	.type	fft_rtc_back_len1092_factors_2_2_13_7_3_wgs_52_tpt_52_halfLds_dp_ip_CI_unitstride_sbrr_dirReg,@function
fft_rtc_back_len1092_factors_2_2_13_7_3_wgs_52_tpt_52_halfLds_dp_ip_CI_unitstride_sbrr_dirReg: ; @fft_rtc_back_len1092_factors_2_2_13_7_3_wgs_52_tpt_52_halfLds_dp_ip_CI_unitstride_sbrr_dirReg
; %bb.0:
	s_mov_b64 s[46:47], s[2:3]
	s_mov_b64 s[44:45], s[0:1]
	s_clause 0x2
	s_load_dwordx4 s[8:11], s[4:5], 0x0
	s_load_dwordx2 s[2:3], s[4:5], 0x50
	s_load_dwordx2 s[12:13], s[4:5], 0x18
	v_mul_u32_u24_e32 v1, 0x4ed, v0
	v_mov_b32_e32 v3, 0
	s_add_u32 s44, s44, s7
	s_addc_u32 s45, s45, 0
	v_add_nc_u32_sdwa v5, s6, v1 dst_sel:DWORD dst_unused:UNUSED_PAD src0_sel:DWORD src1_sel:WORD_1
	v_mov_b32_e32 v1, 0
	v_mov_b32_e32 v6, v3
	;; [unrolled: 1-line block ×3, first 2 shown]
	s_waitcnt lgkmcnt(0)
	v_cmp_lt_u64_e64 s0, s[10:11], 2
	s_and_b32 vcc_lo, exec_lo, s0
	s_cbranch_vccnz .LBB0_8
; %bb.1:
	s_load_dwordx2 s[0:1], s[4:5], 0x10
	v_mov_b32_e32 v1, 0
	s_add_u32 s6, s12, 8
	v_mov_b32_e32 v2, 0
	s_addc_u32 s7, s13, 0
	s_mov_b64 s[16:17], 1
	s_waitcnt lgkmcnt(0)
	s_add_u32 s14, s0, 8
	s_addc_u32 s15, s1, 0
.LBB0_2:                                ; =>This Inner Loop Header: Depth=1
	s_load_dwordx2 s[18:19], s[14:15], 0x0
                                        ; implicit-def: $vgpr7_vgpr8
	s_mov_b32 s0, exec_lo
	s_waitcnt lgkmcnt(0)
	v_or_b32_e32 v4, s19, v6
	v_cmpx_ne_u64_e32 0, v[3:4]
	s_xor_b32 s1, exec_lo, s0
	s_cbranch_execz .LBB0_4
; %bb.3:                                ;   in Loop: Header=BB0_2 Depth=1
	v_cvt_f32_u32_e32 v4, s18
	v_cvt_f32_u32_e32 v7, s19
	s_sub_u32 s0, 0, s18
	s_subb_u32 s20, 0, s19
	v_fmac_f32_e32 v4, 0x4f800000, v7
	v_rcp_f32_e32 v4, v4
	v_mul_f32_e32 v4, 0x5f7ffffc, v4
	v_mul_f32_e32 v7, 0x2f800000, v4
	v_trunc_f32_e32 v7, v7
	v_fmac_f32_e32 v4, 0xcf800000, v7
	v_cvt_u32_f32_e32 v7, v7
	v_cvt_u32_f32_e32 v4, v4
	v_mul_lo_u32 v8, s0, v7
	v_mul_hi_u32 v9, s0, v4
	v_mul_lo_u32 v10, s20, v4
	v_add_nc_u32_e32 v8, v9, v8
	v_mul_lo_u32 v9, s0, v4
	v_add_nc_u32_e32 v8, v8, v10
	v_mul_hi_u32 v10, v4, v9
	v_mul_lo_u32 v11, v4, v8
	v_mul_hi_u32 v12, v4, v8
	v_mul_hi_u32 v13, v7, v9
	v_mul_lo_u32 v9, v7, v9
	v_mul_hi_u32 v14, v7, v8
	v_mul_lo_u32 v8, v7, v8
	v_add_co_u32 v10, vcc_lo, v10, v11
	v_add_co_ci_u32_e32 v11, vcc_lo, 0, v12, vcc_lo
	v_add_co_u32 v9, vcc_lo, v10, v9
	v_add_co_ci_u32_e32 v9, vcc_lo, v11, v13, vcc_lo
	v_add_co_ci_u32_e32 v10, vcc_lo, 0, v14, vcc_lo
	v_add_co_u32 v8, vcc_lo, v9, v8
	v_add_co_ci_u32_e32 v9, vcc_lo, 0, v10, vcc_lo
	v_add_co_u32 v4, vcc_lo, v4, v8
	v_add_co_ci_u32_e32 v7, vcc_lo, v7, v9, vcc_lo
	v_mul_hi_u32 v8, s0, v4
	v_mul_lo_u32 v10, s20, v4
	v_mul_lo_u32 v9, s0, v7
	v_add_nc_u32_e32 v8, v8, v9
	v_mul_lo_u32 v9, s0, v4
	v_add_nc_u32_e32 v8, v8, v10
	v_mul_hi_u32 v10, v4, v9
	v_mul_lo_u32 v11, v4, v8
	v_mul_hi_u32 v12, v4, v8
	v_mul_hi_u32 v13, v7, v9
	v_mul_lo_u32 v9, v7, v9
	v_mul_hi_u32 v14, v7, v8
	v_mul_lo_u32 v8, v7, v8
	v_add_co_u32 v10, vcc_lo, v10, v11
	v_add_co_ci_u32_e32 v11, vcc_lo, 0, v12, vcc_lo
	v_add_co_u32 v9, vcc_lo, v10, v9
	v_add_co_ci_u32_e32 v9, vcc_lo, v11, v13, vcc_lo
	v_add_co_ci_u32_e32 v10, vcc_lo, 0, v14, vcc_lo
	v_add_co_u32 v8, vcc_lo, v9, v8
	v_add_co_ci_u32_e32 v9, vcc_lo, 0, v10, vcc_lo
	v_add_co_u32 v4, vcc_lo, v4, v8
	v_add_co_ci_u32_e32 v11, vcc_lo, v7, v9, vcc_lo
	v_mul_hi_u32 v13, v5, v4
	v_mad_u64_u32 v[9:10], null, v6, v4, 0
	v_mad_u64_u32 v[7:8], null, v5, v11, 0
	;; [unrolled: 1-line block ×3, first 2 shown]
	v_add_co_u32 v4, vcc_lo, v13, v7
	v_add_co_ci_u32_e32 v7, vcc_lo, 0, v8, vcc_lo
	v_add_co_u32 v4, vcc_lo, v4, v9
	v_add_co_ci_u32_e32 v4, vcc_lo, v7, v10, vcc_lo
	v_add_co_ci_u32_e32 v7, vcc_lo, 0, v12, vcc_lo
	v_add_co_u32 v4, vcc_lo, v4, v11
	v_add_co_ci_u32_e32 v9, vcc_lo, 0, v7, vcc_lo
	v_mul_lo_u32 v10, s19, v4
	v_mad_u64_u32 v[7:8], null, s18, v4, 0
	v_mul_lo_u32 v11, s18, v9
	v_sub_co_u32 v7, vcc_lo, v5, v7
	v_add3_u32 v8, v8, v11, v10
	v_sub_nc_u32_e32 v10, v6, v8
	v_subrev_co_ci_u32_e64 v10, s0, s19, v10, vcc_lo
	v_add_co_u32 v11, s0, v4, 2
	v_add_co_ci_u32_e64 v12, s0, 0, v9, s0
	v_sub_co_u32 v13, s0, v7, s18
	v_sub_co_ci_u32_e32 v8, vcc_lo, v6, v8, vcc_lo
	v_subrev_co_ci_u32_e64 v10, s0, 0, v10, s0
	v_cmp_le_u32_e32 vcc_lo, s18, v13
	v_cmp_eq_u32_e64 s0, s19, v8
	v_cndmask_b32_e64 v13, 0, -1, vcc_lo
	v_cmp_le_u32_e32 vcc_lo, s19, v10
	v_cndmask_b32_e64 v14, 0, -1, vcc_lo
	v_cmp_le_u32_e32 vcc_lo, s18, v7
	;; [unrolled: 2-line block ×3, first 2 shown]
	v_cndmask_b32_e64 v15, 0, -1, vcc_lo
	v_cmp_eq_u32_e32 vcc_lo, s19, v10
	v_cndmask_b32_e64 v7, v15, v7, s0
	v_cndmask_b32_e32 v10, v14, v13, vcc_lo
	v_add_co_u32 v13, vcc_lo, v4, 1
	v_add_co_ci_u32_e32 v14, vcc_lo, 0, v9, vcc_lo
	v_cmp_ne_u32_e32 vcc_lo, 0, v10
	v_cndmask_b32_e32 v8, v14, v12, vcc_lo
	v_cndmask_b32_e32 v10, v13, v11, vcc_lo
	v_cmp_ne_u32_e32 vcc_lo, 0, v7
	v_cndmask_b32_e32 v8, v9, v8, vcc_lo
	v_cndmask_b32_e32 v7, v4, v10, vcc_lo
.LBB0_4:                                ;   in Loop: Header=BB0_2 Depth=1
	s_andn2_saveexec_b32 s0, s1
	s_cbranch_execz .LBB0_6
; %bb.5:                                ;   in Loop: Header=BB0_2 Depth=1
	v_cvt_f32_u32_e32 v4, s18
	s_sub_i32 s1, 0, s18
	v_rcp_iflag_f32_e32 v4, v4
	v_mul_f32_e32 v4, 0x4f7ffffe, v4
	v_cvt_u32_f32_e32 v4, v4
	v_mul_lo_u32 v7, s1, v4
	v_mul_hi_u32 v7, v4, v7
	v_add_nc_u32_e32 v4, v4, v7
	v_mul_hi_u32 v4, v5, v4
	v_mul_lo_u32 v7, v4, s18
	v_add_nc_u32_e32 v8, 1, v4
	v_sub_nc_u32_e32 v7, v5, v7
	v_subrev_nc_u32_e32 v9, s18, v7
	v_cmp_le_u32_e32 vcc_lo, s18, v7
	v_cndmask_b32_e32 v7, v7, v9, vcc_lo
	v_cndmask_b32_e32 v4, v4, v8, vcc_lo
	v_cmp_le_u32_e32 vcc_lo, s18, v7
	v_add_nc_u32_e32 v8, 1, v4
	v_cndmask_b32_e32 v7, v4, v8, vcc_lo
	v_mov_b32_e32 v8, v3
.LBB0_6:                                ;   in Loop: Header=BB0_2 Depth=1
	s_or_b32 exec_lo, exec_lo, s0
	s_load_dwordx2 s[0:1], s[6:7], 0x0
	v_mul_lo_u32 v4, v8, s18
	v_mul_lo_u32 v11, v7, s19
	v_mad_u64_u32 v[9:10], null, v7, s18, 0
	s_add_u32 s16, s16, 1
	s_addc_u32 s17, s17, 0
	s_add_u32 s6, s6, 8
	s_addc_u32 s7, s7, 0
	;; [unrolled: 2-line block ×3, first 2 shown]
	v_add3_u32 v4, v10, v11, v4
	v_sub_co_u32 v5, vcc_lo, v5, v9
	v_sub_co_ci_u32_e32 v4, vcc_lo, v6, v4, vcc_lo
	s_waitcnt lgkmcnt(0)
	v_mul_lo_u32 v6, s1, v5
	v_mul_lo_u32 v4, s0, v4
	v_mad_u64_u32 v[1:2], null, s0, v5, v[1:2]
	v_cmp_ge_u64_e64 s0, s[16:17], s[10:11]
	s_and_b32 vcc_lo, exec_lo, s0
	v_add3_u32 v2, v6, v2, v4
	s_cbranch_vccnz .LBB0_9
; %bb.7:                                ;   in Loop: Header=BB0_2 Depth=1
	v_mov_b32_e32 v5, v7
	v_mov_b32_e32 v6, v8
	s_branch .LBB0_2
.LBB0_8:
	v_mov_b32_e32 v8, v6
	v_mov_b32_e32 v7, v5
.LBB0_9:
	s_lshl_b64 s[0:1], s[10:11], 3
	v_mul_hi_u32 v5, 0x4ec4ec5, v0
	s_add_u32 s0, s12, s0
	s_addc_u32 s1, s13, s1
                                        ; implicit-def: $vgpr66_vgpr67
                                        ; implicit-def: $vgpr54_vgpr55
                                        ; implicit-def: $vgpr46_vgpr47
                                        ; implicit-def: $vgpr30_vgpr31
                                        ; implicit-def: $vgpr58_vgpr59
                                        ; implicit-def: $vgpr38_vgpr39
                                        ; implicit-def: $vgpr42_vgpr43
                                        ; implicit-def: $vgpr18_vgpr19
                                        ; implicit-def: $vgpr50_vgpr51
                                        ; implicit-def: $vgpr14_vgpr15
                                        ; implicit-def: $vgpr62_vgpr63
                                        ; implicit-def: $vgpr10_vgpr11
                                        ; implicit-def: $vgpr22_vgpr23
                                        ; implicit-def: $vgpr26_vgpr27
                                        ; implicit-def: $vgpr100_vgpr101
                                        ; implicit-def: $vgpr70_vgpr71
                                        ; implicit-def: $vgpr104_vgpr105
                                        ; implicit-def: $vgpr74_vgpr75
                                        ; implicit-def: $vgpr108_vgpr109
                                        ; implicit-def: $vgpr78_vgpr79
	s_load_dwordx2 s[0:1], s[0:1], 0x0
	s_load_dwordx2 s[4:5], s[4:5], 0x20
	s_waitcnt lgkmcnt(0)
	v_mul_lo_u32 v3, s0, v8
	v_mul_lo_u32 v4, s1, v7
	v_mad_u64_u32 v[1:2], null, s0, v7, v[1:2]
	v_cmp_gt_u64_e32 vcc_lo, s[4:5], v[7:8]
                                        ; implicit-def: $vgpr6_vgpr7
	v_add3_u32 v2, v4, v2, v3
	v_mul_u32_u24_e32 v3, 52, v5
	v_lshlrev_b64 v[1:2], 4, v[1:2]
	v_sub_nc_u32_e32 v146, v0, v3
	buffer_store_dword v1, off, s[44:47], 0 ; 4-byte Folded Spill
	buffer_store_dword v2, off, s[44:47], 0 offset:4 ; 4-byte Folded Spill
                                        ; implicit-def: $vgpr2_vgpr3
	s_and_saveexec_b32 s1, vcc_lo
	s_cbranch_execz .LBB0_13
; %bb.10:
	s_clause 0x1
	buffer_load_dword v2, off, s[44:47], 0
	buffer_load_dword v3, off, s[44:47], 0 offset:4
	v_mov_b32_e32 v147, 0
	s_mov_b32 s4, exec_lo
                                        ; implicit-def: $vgpr64_vgpr65
	v_lshlrev_b64 v[0:1], 4, v[146:147]
	s_waitcnt vmcnt(1)
	v_add_co_u32 v2, s0, s2, v2
	s_waitcnt vmcnt(0)
	v_add_co_ci_u32_e64 v3, s0, s3, v3, s0
	v_add_co_u32 v32, s0, v2, v0
	v_add_co_ci_u32_e64 v33, s0, v3, v1, s0
	v_add_co_u32 v52, s0, 0x2800, v32
	;; [unrolled: 2-line block ×8, first 2 shown]
	v_add_co_ci_u32_e64 v31, s0, 0, v33, s0
	s_clause 0x13
	global_load_dwordx4 v[0:3], v[4:5], off offset:448
	global_load_dwordx4 v[4:7], v[4:5], off offset:1280
	;; [unrolled: 1-line block ×16, first 2 shown]
	global_load_dwordx4 v[76:79], v[32:33], off
	global_load_dwordx4 v[72:75], v[32:33], off offset:832
	global_load_dwordx4 v[106:109], v[34:35], off offset:544
	;; [unrolled: 1-line block ×3, first 2 shown]
                                        ; implicit-def: $vgpr52_vgpr53
	v_cmpx_gt_u32_e32 26, v146
; %bb.11:
	v_add_co_u32 v32, s0, 0x4000, v32
	v_add_co_ci_u32_e64 v33, s0, 0, v33, s0
	s_clause 0x1
	global_load_dwordx4 v[52:55], v[34:35], off offset:128
	global_load_dwordx4 v[64:67], v[32:33], off offset:672
; %bb.12:
	s_or_b32 exec_lo, exec_lo, s4
.LBB0_13:
	s_or_b32 exec_lo, exec_lo, s1
	s_waitcnt vmcnt(1)
	v_add_f64 v[82:83], v[76:77], -v[106:107]
	v_add_f64 v[116:117], v[12:13], -v[48:49]
	s_waitcnt vmcnt(0)
	v_add_f64 v[34:35], v[52:53], -v[64:65]
	v_add_f64 v[86:87], v[72:73], -v[102:103]
	;; [unrolled: 1-line block ×9, first 2 shown]
	v_add_nc_u32_e32 v168, 52, v146
	v_add_nc_u32_e32 v151, 0x68, v146
	;; [unrolled: 1-line block ×6, first 2 shown]
	v_lshl_add_u32 v21, v146, 4, 0
	v_lshl_add_u32 v25, v20, 4, 0
	;; [unrolled: 1-line block ×3, first 2 shown]
	v_cmp_gt_u32_e64 s1, 26, v146
	v_fma_f64 v[80:81], v[76:77], 2.0, -v[82:83]
	v_fma_f64 v[114:115], v[12:13], 2.0, -v[116:117]
	;; [unrolled: 1-line block ×11, first 2 shown]
	v_add_nc_u32_e32 v1, 0x16c, v146
	v_add_nc_u32_e32 v8, 0x1a0, v146
	;; [unrolled: 1-line block ×4, first 2 shown]
	v_lshl_add_u32 v29, v168, 4, 0
	v_lshl_add_u32 v28, v151, 4, 0
	;; [unrolled: 1-line block ×8, first 2 shown]
	ds_write_b128 v21, v[80:83]
	ds_write_b128 v29, v[84:87]
	;; [unrolled: 1-line block ×10, first 2 shown]
	s_and_saveexec_b32 s0, s1
	s_cbranch_execz .LBB0_15
; %bb.14:
	ds_write_b128 v4, v[32:35]
.LBB0_15:
	s_or_b32 exec_lo, exec_lo, s0
	v_lshl_add_u32 v147, v146, 3, 0
	s_waitcnt lgkmcnt(0)
	s_waitcnt_vscnt null, 0x0
	s_barrier
	buffer_gl0_inv
	v_add_nc_u32_e32 v36, 0x1000, v147
	v_add_nc_u32_e32 v37, 0x400, v147
	;; [unrolled: 1-line block ×5, first 2 shown]
	ds_read2_b64 v[110:113], v147 offset1:52
	ds_read2_b64 v[114:117], v147 offset0:104 offset1:156
	ds_read2_b64 v[96:99], v36 offset0:34 offset1:86
	ds_read2_b64 v[92:95], v36 offset0:138 offset1:190
	ds_read2_b64 v[118:121], v37 offset0:80 offset1:132
	ds_read2_b64 v[88:91], v40 offset0:114 offset1:166
	ds_read2_b64 v[122:125], v41 offset0:56 offset1:108
	ds_read2_b64 v[84:87], v44 offset0:90 offset1:142
	ds_read2_b64 v[126:129], v41 offset0:160 offset1:212
	ds_read2_b64 v[80:83], v44 offset0:194 offset1:246
	s_and_saveexec_b32 s0, s1
	s_cbranch_execz .LBB0_17
; %bb.16:
	ds_read_b64 v[32:33], v147 offset:4160
	ds_read_b64 v[34:35], v147 offset:8528
.LBB0_17:
	s_or_b32 exec_lo, exec_lo, s0
	v_add_f64 v[52:53], v[78:79], -v[108:109]
	v_add_f64 v[132:133], v[30:31], -v[46:47]
	v_add_f64 v[46:47], v[54:55], -v[66:67]
	v_add_f64 v[60:61], v[74:75], -v[104:105]
	v_add_f64 v[64:65], v[70:71], -v[100:101]
	v_add_f64 v[68:69], v[2:3], -v[26:27]
	v_add_f64 v[72:73], v[6:7], -v[22:23]
	v_add_f64 v[76:77], v[10:11], -v[62:63]
	v_add_f64 v[102:103], v[14:15], -v[50:51]
	v_add_f64 v[42:43], v[18:19], -v[42:43]
	v_add_f64 v[106:107], v[38:39], -v[58:59]
	s_waitcnt lgkmcnt(0)
	s_barrier
	buffer_gl0_inv
	v_fma_f64 v[50:51], v[78:79], 2.0, -v[52:53]
	v_fma_f64 v[130:131], v[30:31], 2.0, -v[132:133]
	;; [unrolled: 1-line block ×11, first 2 shown]
	ds_write_b128 v21, v[50:53]
	ds_write_b128 v29, v[58:61]
	ds_write_b128 v28, v[62:65]
	ds_write_b128 v25, v[66:69]
	ds_write_b128 v24, v[70:73]
	ds_write_b128 v17, v[74:77]
	ds_write_b128 v13, v[100:103]
	ds_write_b128 v16, v[40:43]
	ds_write_b128 v12, v[104:107]
	ds_write_b128 v5, v[130:133]
	s_and_saveexec_b32 s0, s1
	s_cbranch_execz .LBB0_19
; %bb.18:
	ds_write_b128 v4, v[44:47]
.LBB0_19:
	s_or_b32 exec_lo, exec_lo, s0
	v_add_nc_u32_e32 v6, 0x1000, v147
	v_add_nc_u32_e32 v7, 0x400, v147
	;; [unrolled: 1-line block ×5, first 2 shown]
	s_waitcnt lgkmcnt(0)
	s_barrier
	buffer_gl0_inv
	ds_read2_b64 v[2:5], v147 offset1:52
	ds_read2_b64 v[68:71], v6 offset0:34 offset1:86
	ds_read2_b64 v[64:67], v147 offset0:104 offset1:156
	;; [unrolled: 1-line block ×9, first 2 shown]
	v_lshlrev_b32_e32 v152, 1, v146
	v_lshlrev_b32_e32 v153, 1, v168
	;; [unrolled: 1-line block ×10, first 2 shown]
	s_and_saveexec_b32 s0, s1
	s_cbranch_execz .LBB0_21
; %bb.20:
	ds_read_b64 v[44:45], v147 offset:4160
	ds_read_b64 v[46:47], v147 offset:8528
.LBB0_21:
	s_or_b32 exec_lo, exec_lo, s0
	v_and_b32_e32 v6, 1, v146
	v_lshlrev_b32_e32 v7, 4, v6
	v_and_or_b32 v148, 0x3fc, v1, v6
	v_and_or_b32 v149, 0x3fc, v10, v6
	;; [unrolled: 1-line block ×4, first 2 shown]
	global_load_dwordx4 v[142:145], v7, s[8:9]
	v_and_or_b32 v59, 0x1fc, v154, v6
	v_and_or_b32 v60, 0x1fc, v155, v6
	;; [unrolled: 1-line block ×5, first 2 shown]
	v_lshl_add_u32 v109, v58, 3, 0
	s_waitcnt vmcnt(0) lgkmcnt(0)
	s_barrier
	buffer_gl0_inv
	v_mul_f64 v[7:8], v[68:69], v[144:145]
	v_mul_f64 v[20:21], v[78:79], v[144:145]
	;; [unrolled: 1-line block ×11, first 2 shown]
	v_fma_f64 v[8:9], v[96:97], v[142:143], v[7:8]
	v_fma_f64 v[20:21], v[90:91], v[142:143], v[20:21]
	;; [unrolled: 1-line block ×11, first 2 shown]
	v_lshlrev_b32_e32 v7, 1, v0
	v_and_or_b32 v0, 0x7c, v152, v6
	v_lshl_add_u32 v108, v0, 3, 0
	v_add_f64 v[40:41], v[110:111], -v[8:9]
	v_add_f64 v[42:43], v[120:121], -v[20:21]
	;; [unrolled: 1-line block ×11, first 2 shown]
	v_fma_f64 v[0:1], v[110:111], 2.0, -v[40:41]
	v_fma_f64 v[54:55], v[120:121], 2.0, -v[42:43]
	v_fma_f64 v[10:11], v[124:125], 2.0, -v[36:37]
	v_fma_f64 v[38:39], v[126:127], 2.0, -v[28:29]
	v_fma_f64 v[30:31], v[128:129], 2.0, -v[24:25]
	v_fma_f64 v[26:27], v[32:33], 2.0, -v[20:21]
	v_fma_f64 v[22:23], v[112:113], 2.0, -v[12:13]
	v_fma_f64 v[48:49], v[114:115], 2.0, -v[14:15]
	v_fma_f64 v[50:51], v[116:117], 2.0, -v[16:17]
	v_fma_f64 v[52:53], v[118:119], 2.0, -v[18:19]
	v_fma_f64 v[56:57], v[122:123], 2.0, -v[8:9]
	v_lshl_add_u32 v110, v59, 3, 0
	v_lshl_add_u32 v111, v60, 3, 0
	v_lshl_add_u32 v112, v61, 3, 0
	v_lshl_add_u32 v113, v62, 3, 0
	v_lshl_add_u32 v114, v63, 3, 0
	v_lshl_add_u32 v115, v148, 3, 0
	v_lshl_add_u32 v116, v149, 3, 0
	v_lshl_add_u32 v117, v158, 3, 0
	ds_write2_b64 v108, v[0:1], v[40:41] offset1:2
	ds_write2_b64 v109, v[22:23], v[12:13] offset1:2
	;; [unrolled: 1-line block ×10, first 2 shown]
	s_and_saveexec_b32 s0, s1
	s_cbranch_execz .LBB0_23
; %bb.22:
	v_and_or_b32 v0, 0x47c, v7, v6
	v_lshl_add_u32 v0, v0, 3, 0
	ds_write2_b64 v0, v[26:27], v[20:21] offset1:2
.LBB0_23:
	s_or_b32 exec_lo, exec_lo, s0
	v_add_nc_u32_e32 v0, 0x800, v147
	v_add_nc_u32_e32 v13, 0xc00, v147
	v_add_nc_u32_e32 v12, 0x1000, v147
	v_add_nc_u32_e32 v1, 0x1800, v147
	s_waitcnt lgkmcnt(0)
	s_barrier
	buffer_gl0_inv
	ds_read2_b64 v[16:19], v147 offset1:84
	ds_read2_b64 v[60:63], v147 offset0:168 offset1:252
	ds_read2_b64 v[56:59], v0 offset0:80 offset1:164
	;; [unrolled: 1-line block ×5, first 2 shown]
	ds_read_b64 v[160:161], v147 offset:8064
	v_cmp_gt_u32_e64 s0, 32, v146
                                        ; implicit-def: $vgpr158_vgpr159
                                        ; implicit-def: $vgpr14_vgpr15
	s_and_saveexec_b32 s4, s0
	s_cbranch_execz .LBB0_25
; %bb.24:
	v_add_nc_u32_e32 v13, 0x400, v147
	v_add_nc_u32_e32 v14, 0x1400, v147
	ds_read2_b64 v[8:11], v147 offset0:52 offset1:136
	ds_read2_b64 v[28:31], v0 offset0:132 offset1:216
	;; [unrolled: 1-line block ×6, first 2 shown]
	ds_read_b64 v[158:159], v147 offset:8480
.LBB0_25:
	s_or_b32 exec_lo, exec_lo, s4
	v_mul_f64 v[0:1], v[96:97], v[144:145]
	v_mul_f64 v[32:33], v[98:99], v[144:145]
	;; [unrolled: 1-line block ×11, first 2 shown]
	s_waitcnt lgkmcnt(0)
	s_barrier
	buffer_gl0_inv
	v_fma_f64 v[0:1], v[68:69], v[142:143], -v[0:1]
	v_fma_f64 v[32:33], v[70:71], v[142:143], -v[32:33]
	;; [unrolled: 1-line block ×11, first 2 shown]
	v_add_f64 v[46:47], v[2:3], -v[0:1]
	v_add_f64 v[84:85], v[4:5], -v[32:33]
	;; [unrolled: 1-line block ×11, first 2 shown]
	v_fma_f64 v[34:35], v[2:3], 2.0, -v[46:47]
	v_fma_f64 v[4:5], v[4:5], 2.0, -v[84:85]
	;; [unrolled: 1-line block ×11, first 2 shown]
	ds_write2_b64 v108, v[34:35], v[46:47] offset1:2
	ds_write2_b64 v109, v[4:5], v[84:85] offset1:2
	;; [unrolled: 1-line block ×10, first 2 shown]
	s_and_saveexec_b32 s4, s1
	s_cbranch_execz .LBB0_27
; %bb.26:
	v_and_or_b32 v4, 0x47c, v7, v6
	v_lshl_add_u32 v4, v4, 3, 0
	ds_write2_b64 v4, v[70:71], v[32:33] offset1:2
.LBB0_27:
	s_or_b32 exec_lo, exec_lo, s4
	v_add_nc_u32_e32 v34, 0x800, v147
	v_add_nc_u32_e32 v45, 0xc00, v147
	v_add_nc_u32_e32 v35, 0x1000, v147
	v_add_nc_u32_e32 v44, 0x1800, v147
	s_waitcnt lgkmcnt(0)
	s_barrier
	buffer_gl0_inv
	ds_read2_b64 v[4:7], v147 offset1:84
	ds_read2_b64 v[100:103], v147 offset0:168 offset1:252
	ds_read2_b64 v[96:99], v34 offset0:80 offset1:164
	ds_read2_b64 v[84:87], v45 offset0:120 offset1:204
	ds_read2_b64 v[88:91], v35 offset0:160 offset1:244
	ds_read2_b64 v[92:95], v44 offset0:72 offset1:156
	ds_read_b64 v[162:163], v147 offset:8064
                                        ; implicit-def: $vgpr144_vgpr145
                                        ; implicit-def: $vgpr46_vgpr47
	s_and_saveexec_b32 s1, s0
	s_cbranch_execz .LBB0_29
; %bb.28:
	v_add_nc_u32_e32 v32, 0x400, v147
	v_add_nc_u32_e32 v33, 0x1400, v147
	ds_read2_b64 v[0:3], v147 offset0:52 offset1:136
	ds_read2_b64 v[72:75], v34 offset0:132 offset1:216
	;; [unrolled: 1-line block ×6, first 2 shown]
	ds_read_b64 v[144:145], v147 offset:8480
.LBB0_29:
	s_or_b32 exec_lo, exec_lo, s1
	v_and_b32_e32 v167, 3, v146
	s_mov_b32 s6, 0x42a4c3d2
	s_mov_b32 s10, 0x66966769
	;; [unrolled: 1-line block ×4, first 2 shown]
	v_mul_u32_u24_e32 v64, 12, v167
	s_mov_b32 s12, 0x2ef20147
	s_mov_b32 s14, 0x24c2f84
	;; [unrolled: 1-line block ×4, first 2 shown]
	v_lshlrev_b32_e32 v112, 4, v64
	s_mov_b32 s15, 0xbfe5384d
	s_mov_b32 s16, 0x4bc48dbf
	;; [unrolled: 1-line block ×4, first 2 shown]
	s_clause 0xb
	global_load_dwordx4 v[124:127], v112, s[8:9] offset:48
	global_load_dwordx4 v[120:123], v112, s[8:9] offset:64
	global_load_dwordx4 v[116:119], v112, s[8:9] offset:80
	global_load_dwordx4 v[132:135], v112, s[8:9] offset:96
	global_load_dwordx4 v[64:67], v112, s[8:9] offset:32
	global_load_dwordx4 v[136:139], v112, s[8:9] offset:112
	global_load_dwordx4 v[128:131], v112, s[8:9] offset:128
	global_load_dwordx4 v[80:83], v112, s[8:9] offset:208
	global_load_dwordx4 v[140:143], v112, s[8:9] offset:144
	global_load_dwordx4 v[108:111], v112, s[8:9] offset:160
	global_load_dwordx4 v[104:107], v112, s[8:9] offset:192
	global_load_dwordx4 v[112:115], v112, s[8:9] offset:176
	s_mov_b32 s22, 0x1ea71119
	s_mov_b32 s26, 0xebaa3ed8
	;; [unrolled: 1-line block ×24, first 2 shown]
	v_lshrrev_b32_e32 v255, 2, v146
	s_waitcnt vmcnt(0) lgkmcnt(0)
	s_barrier
	buffer_gl0_inv
	v_mul_f64 v[169:170], v[100:101], v[126:127]
	v_mul_f64 v[171:172], v[102:103], v[122:123]
	;; [unrolled: 1-line block ×22, first 2 shown]
	v_fma_f64 v[126:127], v[60:61], v[124:125], v[169:170]
	v_mul_f64 v[211:212], v[24:25], v[138:139]
	v_mul_f64 v[223:224], v[162:163], v[82:83]
	;; [unrolled: 1-line block ×4, first 2 shown]
	v_fma_f64 v[134:135], v[18:19], v[64:65], v[122:123]
	v_fma_f64 v[122:123], v[62:63], v[120:121], v[171:172]
	v_mul_f64 v[207:208], v[42:43], v[130:131]
	v_mul_f64 v[215:216], v[70:71], v[130:131]
	;; [unrolled: 1-line block ×10, first 2 shown]
	v_fma_f64 v[138:139], v[6:7], v[64:65], -v[118:119]
	v_fma_f64 v[18:19], v[162:163], v[80:81], -v[213:214]
	v_fma_f64 v[118:119], v[56:57], v[116:117], v[185:186]
	v_mul_f64 v[243:244], v[52:53], v[114:115]
	v_fma_f64 v[130:131], v[100:101], v[124:125], -v[173:174]
	v_fma_f64 v[100:101], v[36:37], v[124:125], v[177:178]
	v_fma_f64 v[60:61], v[78:79], v[120:121], -v[183:184]
	v_fma_f64 v[142:143], v[160:161], v[80:81], v[223:224]
	v_fma_f64 v[36:37], v[94:95], v[104:105], -v[229:230]
	v_mul_f64 v[249:250], v[44:45], v[114:115]
	v_add_f64 v[62:63], v[16:17], v[134:135]
	v_mul_f64 v[251:252], v[12:13], v[114:115]
	v_fma_f64 v[114:115], v[58:59], v[132:133], v[187:188]
	v_mul_f64 v[227:228], v[50:51], v[110:111]
	v_mul_f64 v[237:238], v[34:35], v[110:111]
	;; [unrolled: 1-line block ×9, first 2 shown]
	v_fma_f64 v[110:111], v[102:103], v[120:121], -v[175:176]
	v_add_f64 v[78:79], v[138:139], -v[18:19]
	v_fma_f64 v[102:103], v[76:77], v[124:125], -v[179:180]
	v_fma_f64 v[82:83], v[38:39], v[120:121], v[181:182]
	v_fma_f64 v[106:107], v[96:97], v[116:117], -v[189:190]
	v_fma_f64 v[96:97], v[98:99], v[132:133], -v[191:192]
	v_fma_f64 v[76:77], v[28:29], v[116:117], v[193:194]
	v_fma_f64 v[56:57], v[72:73], v[116:117], -v[195:196]
	v_fma_f64 v[6:7], v[40:41], v[136:137], v[201:202]
	v_fma_f64 v[94:95], v[84:85], v[136:137], -v[205:206]
	v_add_f64 v[62:63], v[62:63], v[126:127]
	v_fma_f64 v[28:29], v[92:93], v[112:113], -v[243:244]
	v_fma_f64 v[124:125], v[54:55], v[104:105], v[235:236]
	v_fma_f64 v[120:121], v[52:53], v[112:113], v[241:242]
	;; [unrolled: 1-line block ×4, first 2 shown]
	v_fma_f64 v[52:53], v[74:75], v[132:133], -v[199:200]
	v_fma_f64 v[54:55], v[24:25], v[136:137], v[209:210]
	v_fma_f64 v[50:51], v[68:69], v[136:137], -v[211:212]
	v_add_f64 v[24:25], v[130:131], -v[36:37]
	v_fma_f64 v[68:69], v[20:21], v[140:141], v[231:232]
	v_add_f64 v[20:21], v[134:135], v[142:143]
	v_fma_f64 v[40:41], v[88:89], v[140:141], -v[225:226]
	v_mul_f64 v[132:133], v[78:79], s[6:7]
	v_mul_f64 v[136:137], v[78:79], s[10:11]
	v_fma_f64 v[98:99], v[48:49], v[140:141], v[219:220]
	v_fma_f64 v[92:93], v[42:43], v[128:129], v[203:204]
	v_fma_f64 v[42:43], v[32:33], v[140:141], -v[233:234]
	v_mul_f64 v[140:141], v[78:79], s[12:13]
	v_mul_f64 v[160:161], v[78:79], s[14:15]
	v_fma_f64 v[84:85], v[86:87], v[128:129], -v[207:208]
	v_fma_f64 v[58:59], v[26:27], v[128:129], v[215:216]
	v_add_f64 v[62:63], v[62:63], v[122:123]
	v_fma_f64 v[48:49], v[70:71], v[128:129], -v[217:218]
	v_mul_f64 v[128:129], v[78:79], s[4:5]
	v_mul_f64 v[78:79], v[78:79], s[16:17]
	v_fma_f64 v[38:39], v[90:91], v[108:109], -v[227:228]
	v_fma_f64 v[72:73], v[22:23], v[108:109], v[237:238]
	v_add_f64 v[22:23], v[110:111], -v[28:29]
	v_add_f64 v[26:27], v[126:127], v[124:125]
	v_add_f64 v[30:31], v[122:123], v[120:121]
	v_mul_f64 v[171:172], v[24:25], s[12:13]
	v_mul_f64 v[173:174], v[24:25], s[16:17]
	;; [unrolled: 1-line block ×4, first 2 shown]
	v_fma_f64 v[205:206], v[20:21], s[22:23], v[132:133]
	v_fma_f64 v[132:133], v[20:21], s[22:23], -v[132:133]
	v_fma_f64 v[207:208], v[20:21], s[26:27], v[136:137]
	v_mul_f64 v[162:163], v[24:25], s[6:7]
	v_mul_f64 v[24:25], v[24:25], s[28:29]
	v_fma_f64 v[209:210], v[20:21], s[30:31], v[140:141]
	v_fma_f64 v[211:212], v[20:21], s[34:35], v[160:161]
	v_fma_f64 v[136:137], v[20:21], s[26:27], -v[136:137]
	v_fma_f64 v[140:141], v[20:21], s[30:31], -v[140:141]
	v_add_f64 v[62:63], v[62:63], v[118:119]
	v_fma_f64 v[160:161], v[20:21], s[34:35], -v[160:161]
	v_fma_f64 v[203:204], v[20:21], s[18:19], v[128:129]
	v_fma_f64 v[128:129], v[20:21], s[18:19], -v[128:129]
	v_fma_f64 v[213:214], v[20:21], s[36:37], v[78:79]
	v_fma_f64 v[20:21], v[20:21], s[36:37], -v[78:79]
	v_add_f64 v[32:33], v[106:107], -v[38:39]
	v_mul_f64 v[181:182], v[22:23], s[16:17]
	v_mul_f64 v[183:184], v[22:23], s[38:39]
	v_fma_f64 v[215:216], v[26:27], s[30:31], v[171:172]
	v_fma_f64 v[171:172], v[26:27], s[30:31], -v[171:172]
	v_fma_f64 v[217:218], v[26:27], s[36:37], v[173:174]
	v_mul_f64 v[185:186], v[22:23], s[28:29]
	v_add_f64 v[205:206], v[16:17], v[205:206]
	v_add_f64 v[132:133], v[16:17], v[132:133]
	;; [unrolled: 1-line block ×3, first 2 shown]
	v_mul_f64 v[187:188], v[22:23], s[6:7]
	v_fma_f64 v[219:220], v[26:27], s[34:35], v[175:176]
	v_fma_f64 v[221:222], v[26:27], s[26:27], v[177:178]
	v_add_f64 v[209:210], v[16:17], v[209:210]
	v_add_f64 v[211:212], v[16:17], v[211:212]
	v_mul_f64 v[179:180], v[22:23], s[10:11]
	v_add_f64 v[62:63], v[62:63], v[114:115]
	v_mul_f64 v[22:23], v[22:23], s[14:15]
	v_fma_f64 v[175:176], v[26:27], s[34:35], -v[175:176]
	v_fma_f64 v[223:224], v[26:27], s[18:19], v[24:25]
	v_fma_f64 v[24:25], v[26:27], s[18:19], -v[24:25]
	v_add_f64 v[203:204], v[16:17], v[203:204]
	v_add_f64 v[128:129], v[16:17], v[128:129]
	;; [unrolled: 1-line block ×7, first 2 shown]
	v_fma_f64 v[177:178], v[26:27], s[26:27], -v[177:178]
	v_fma_f64 v[173:174], v[26:27], s[36:37], -v[173:174]
	v_fma_f64 v[78:79], v[26:27], s[22:23], v[162:163]
	v_fma_f64 v[162:163], v[26:27], s[22:23], -v[162:163]
	v_add_f64 v[70:71], v[118:119], v[116:117]
	v_add_f64 v[74:75], v[96:97], -v[40:41]
	v_mul_f64 v[191:192], v[32:33], s[20:21]
	v_mul_f64 v[193:194], v[32:33], s[28:29]
	v_fma_f64 v[26:27], v[30:31], s[36:37], v[181:182]
	v_fma_f64 v[181:182], v[30:31], s[36:37], -v[181:182]
	v_add_f64 v[62:63], v[62:63], v[6:7]
	v_fma_f64 v[227:228], v[30:31], s[30:31], v[183:184]
	v_add_f64 v[205:206], v[215:216], v[205:206]
	v_add_f64 v[132:133], v[171:172], v[132:133]
	;; [unrolled: 1-line block ×3, first 2 shown]
	v_mul_f64 v[195:196], v[32:33], s[10:11]
	v_mul_f64 v[197:198], v[32:33], s[42:43]
	v_fma_f64 v[229:230], v[30:31], s[18:19], v[185:186]
	v_fma_f64 v[20:21], v[30:31], s[22:23], v[187:188]
	v_add_f64 v[209:210], v[219:220], v[209:210]
	v_add_f64 v[211:212], v[221:222], v[211:212]
	v_mul_f64 v[189:190], v[32:33], s[12:13]
	v_mul_f64 v[32:33], v[32:33], s[40:41]
	v_fma_f64 v[185:186], v[30:31], s[18:19], -v[185:186]
	v_fma_f64 v[231:232], v[30:31], s[34:35], v[22:23]
	v_fma_f64 v[22:23], v[30:31], s[34:35], -v[22:23]
	v_add_f64 v[140:141], v[175:176], v[140:141]
	v_add_f64 v[213:214], v[223:224], v[213:214]
	;; [unrolled: 1-line block ×3, first 2 shown]
	v_fma_f64 v[187:188], v[30:31], s[22:23], -v[187:188]
	v_add_f64 v[160:161], v[177:178], v[160:161]
	v_fma_f64 v[183:184], v[30:31], s[30:31], -v[183:184]
	v_add_f64 v[62:63], v[62:63], v[92:93]
	v_add_f64 v[136:137], v[173:174], v[136:137]
	v_fma_f64 v[225:226], v[30:31], s[26:27], v[179:180]
	v_add_f64 v[78:79], v[78:79], v[203:204]
	v_fma_f64 v[179:180], v[30:31], s[26:27], -v[179:180]
	v_add_f64 v[128:129], v[162:163], v[128:129]
	v_add_f64 v[86:87], v[114:115], v[98:99]
	v_add_f64 v[88:89], v[94:95], -v[84:85]
	v_mul_f64 v[199:200], v[74:75], s[14:15]
	v_mul_f64 v[201:202], v[74:75], s[24:25]
	;; [unrolled: 1-line block ×6, first 2 shown]
	v_fma_f64 v[175:176], v[70:71], s[34:35], v[191:192]
	v_fma_f64 v[191:192], v[70:71], s[34:35], -v[191:192]
	v_fma_f64 v[177:178], v[70:71], s[18:19], v[193:194]
	v_add_f64 v[26:27], v[26:27], v[205:206]
	v_add_f64 v[132:133], v[181:182], v[132:133]
	;; [unrolled: 1-line block ×3, first 2 shown]
	v_fma_f64 v[223:224], v[70:71], s[26:27], v[195:196]
	v_fma_f64 v[24:25], v[70:71], s[36:37], v[197:198]
	v_add_f64 v[62:63], v[62:63], v[98:99]
	v_add_f64 v[209:210], v[229:230], v[209:210]
	v_add_f64 v[20:21], v[20:21], v[211:212]
	v_fma_f64 v[173:174], v[70:71], s[22:23], v[32:33]
	v_fma_f64 v[32:33], v[70:71], s[22:23], -v[32:33]
	v_add_f64 v[140:141], v[185:186], v[140:141]
	v_add_f64 v[185:186], v[231:232], v[213:214]
	;; [unrolled: 1-line block ×3, first 2 shown]
	v_fma_f64 v[195:196], v[70:71], s[26:27], -v[195:196]
	v_fma_f64 v[197:198], v[70:71], s[36:37], -v[197:198]
	v_add_f64 v[22:23], v[187:188], v[160:161]
	v_fma_f64 v[193:194], v[70:71], s[18:19], -v[193:194]
	v_add_f64 v[136:137], v[183:184], v[136:137]
	v_fma_f64 v[221:222], v[70:71], s[30:31], v[189:190]
	v_add_f64 v[78:79], v[225:226], v[78:79]
	v_fma_f64 v[189:190], v[70:71], s[30:31], -v[189:190]
	v_add_f64 v[128:129], v[179:180], v[128:129]
	v_add_f64 v[90:91], v[6:7], v[92:93]
	v_mul_f64 v[171:172], v[88:89], s[16:17]
	v_mul_f64 v[162:163], v[88:89], s[28:29]
	;; [unrolled: 1-line block ×3, first 2 shown]
	v_fma_f64 v[225:226], v[86:87], s[26:27], v[201:202]
	v_add_f64 v[62:63], v[62:63], v[116:117]
	v_fma_f64 v[201:202], v[86:87], s[26:27], -v[201:202]
	v_fma_f64 v[205:206], v[86:87], s[34:35], v[199:200]
	v_fma_f64 v[199:200], v[86:87], s[34:35], -v[199:200]
	v_fma_f64 v[181:182], v[86:87], s[22:23], v[30:31]
	;; [unrolled: 2-line block ×5, first 2 shown]
	v_fma_f64 v[74:75], v[86:87], s[30:31], -v[74:75]
	v_add_f64 v[26:27], v[175:176], v[26:27]
	v_add_f64 v[86:87], v[191:192], v[132:133]
	;; [unrolled: 1-line block ×3, first 2 shown]
	v_mul_f64 v[219:220], v[88:89], s[40:41]
	v_mul_f64 v[70:71], v[88:89], s[12:13]
	v_add_f64 v[175:176], v[223:224], v[209:210]
	v_add_f64 v[20:21], v[24:25], v[20:21]
	v_mul_f64 v[88:89], v[88:89], s[24:25]
	v_add_f64 v[24:25], v[173:174], v[185:186]
	v_add_f64 v[16:17], v[32:33], v[16:17]
	;; [unrolled: 1-line block ×8, first 2 shown]
	v_fma_f64 v[211:212], v[90:91], s[18:19], v[162:163]
	v_fma_f64 v[213:214], v[90:91], s[36:37], v[171:172]
	v_fma_f64 v[136:137], v[90:91], s[36:37], -v[171:172]
	v_fma_f64 v[171:172], v[90:91], s[34:35], v[217:218]
	v_fma_f64 v[162:163], v[90:91], s[18:19], -v[162:163]
	v_fma_f64 v[173:174], v[90:91], s[34:35], -v[217:218]
	v_add_f64 v[26:27], v[225:226], v[26:27]
	v_add_f64 v[201:202], v[201:202], v[86:87]
	;; [unrolled: 1-line block ×3, first 2 shown]
	v_fma_f64 v[177:178], v[90:91], s[22:23], v[219:220]
	v_fma_f64 v[189:190], v[90:91], s[30:31], v[70:71]
	v_add_f64 v[160:161], v[160:161], v[175:176]
	v_add_f64 v[20:21], v[183:184], v[20:21]
	v_fma_f64 v[193:194], v[90:91], s[26:27], v[88:89]
	v_fma_f64 v[195:196], v[90:91], s[26:27], -v[88:89]
	v_add_f64 v[24:25], v[203:204], v[24:25]
	v_add_f64 v[16:17], v[74:75], v[16:17]
	v_fma_f64 v[185:186], v[90:91], s[22:23], -v[219:220]
	v_fma_f64 v[191:192], v[90:91], s[30:31], -v[70:71]
	v_add_f64 v[140:141], v[179:180], v[140:141]
	v_add_f64 v[22:23], v[187:188], v[22:23]
	;; [unrolled: 1-line block ×6, first 2 shown]
	v_fma_f64 v[70:71], v[34:35], v[108:109], -v[239:240]
	v_fma_f64 v[86:87], v[10:11], v[64:65], v[245:246]
	v_fma_f64 v[88:89], v[2:3], v[64:65], -v[247:248]
	v_fma_f64 v[64:65], v[12:13], v[112:113], v[249:250]
	;; [unrolled: 2-line block ×4, first 2 shown]
	v_fma_f64 v[44:45], v[144:145], v[80:81], -v[169:170]
	v_add_f64 v[10:11], v[211:212], v[26:27]
	v_add_f64 v[14:15], v[171:172], v[132:133]
	;; [unrolled: 1-line block ×13, first 2 shown]
	v_mul_u32_u24_e32 v80, 52, v255
	v_lshrrev_b32_e32 v104, 2, v168
	v_or_b32_e32 v80, v80, v167
	v_lshl_add_u32 v105, v80, 3, 0
	ds_write2_b64 v105, v[10:11], v[14:15] offset0:8 offset1:12
	ds_write2_b64 v105, v[26:27], v[20:21] offset0:16 offset1:20
	;; [unrolled: 1-line block ×5, first 2 shown]
	ds_write2_b64 v105, v[32:33], v[2:3] offset1:4
	ds_write_b64 v105, v[74:75] offset:384
	s_and_saveexec_b32 s1, s0
	s_cbranch_execz .LBB0_31
; %bb.30:
	v_add_f64 v[2:3], v[8:9], v[86:87]
	v_add_f64 v[22:23], v[88:89], -v[44:45]
	v_add_f64 v[20:21], v[102:103], -v[46:47]
	v_add_f64 v[74:75], v[86:87], v[90:91]
	v_add_f64 v[16:17], v[60:61], -v[62:63]
	v_add_f64 v[34:35], v[100:101], v[78:79]
	v_add_f64 v[14:15], v[56:57], -v[70:71]
	v_add_f64 v[32:33], v[82:83], v[64:65]
	v_add_f64 v[12:13], v[52:53], -v[42:43]
	v_add_f64 v[30:31], v[76:77], v[72:73]
	v_add_f64 v[10:11], v[50:51], -v[48:49]
	v_add_f64 v[26:27], v[66:67], v[68:69]
	v_add_f64 v[24:25], v[54:55], v[58:59]
	v_add_f64 v[2:3], v[2:3], v[100:101]
	v_mul_f64 v[136:137], v[22:23], s[16:17]
	v_mul_f64 v[162:163], v[22:23], s[14:15]
	;; [unrolled: 1-line block ×21, first 2 shown]
	v_add_f64 v[2:3], v[2:3], v[82:83]
	v_fma_f64 v[212:213], v[74:75], s[36:37], -v[136:137]
	v_fma_f64 v[136:137], v[74:75], s[36:37], v[136:137]
	v_fma_f64 v[224:225], v[74:75], s[34:35], -v[162:163]
	v_fma_f64 v[162:163], v[74:75], s[34:35], v[162:163]
	;; [unrolled: 2-line block ×3, first 2 shown]
	v_fma_f64 v[230:231], v[74:75], s[22:23], v[200:201]
	v_fma_f64 v[176:177], v[74:75], s[30:31], v[176:177]
	v_fma_f64 v[188:189], v[74:75], s[26:27], -v[188:189]
	v_fma_f64 v[200:201], v[74:75], s[22:23], -v[200:201]
	v_fma_f64 v[232:233], v[74:75], s[18:19], v[22:23]
	v_fma_f64 v[22:23], v[74:75], s[18:19], -v[22:23]
	v_fma_f64 v[210:211], v[34:35], s[18:19], -v[132:133]
	v_fma_f64 v[132:133], v[34:35], s[18:19], v[132:133]
	v_fma_f64 v[222:223], v[34:35], s[26:27], -v[160:161]
	v_fma_f64 v[74:75], v[34:35], s[26:27], v[160:161]
	;; [unrolled: 2-line block ×4, first 2 shown]
	v_fma_f64 v[236:237], v[34:35], s[30:31], -v[198:199]
	v_add_f64 v[2:3], v[2:3], v[76:77]
	v_fma_f64 v[198:199], v[34:35], s[30:31], v[198:199]
	v_fma_f64 v[238:239], v[34:35], s[22:23], -v[20:21]
	v_fma_f64 v[20:21], v[34:35], s[22:23], v[20:21]
	v_add_f64 v[34:35], v[8:9], v[212:213]
	v_add_f64 v[136:137], v[8:9], v[136:137]
	;; [unrolled: 1-line block ×12, first 2 shown]
	v_mul_f64 v[182:183], v[14:15], s[28:29]
	v_mul_f64 v[194:195], v[14:15], s[20:21]
	;; [unrolled: 1-line block ×3, first 2 shown]
	v_fma_f64 v[208:209], v[32:33], s[34:35], -v[128:129]
	v_fma_f64 v[128:129], v[32:33], s[34:35], v[128:129]
	v_fma_f64 v[220:221], v[32:33], s[22:23], -v[158:159]
	v_add_f64 v[2:3], v[2:3], v[66:67]
	v_fma_f64 v[22:23], v[32:33], s[22:23], v[158:159]
	v_fma_f64 v[158:159], v[32:33], s[18:19], -v[172:173]
	v_fma_f64 v[172:173], v[32:33], s[18:19], v[172:173]
	v_fma_f64 v[232:233], v[32:33], s[30:31], -v[184:185]
	;; [unrolled: 2-line block ×4, first 2 shown]
	v_fma_f64 v[16:17], v[32:33], s[26:27], v[16:17]
	v_add_f64 v[32:33], v[210:211], v[34:35]
	v_add_f64 v[34:35], v[132:133], v[136:137]
	;; [unrolled: 1-line block ×13, first 2 shown]
	v_mul_f64 v[108:109], v[12:13], s[12:13]
	v_mul_f64 v[144:145], v[12:13], s[28:29]
	;; [unrolled: 1-line block ×6, first 2 shown]
	v_fma_f64 v[206:207], v[30:31], s[22:23], -v[112:113]
	v_fma_f64 v[112:113], v[30:31], s[22:23], v[112:113]
	v_fma_f64 v[218:219], v[30:31], s[36:37], -v[148:149]
	v_fma_f64 v[148:149], v[30:31], s[36:37], v[148:149]
	;; [unrolled: 2-line block ×6, first 2 shown]
	v_add_f64 v[30:31], v[208:209], v[32:33]
	v_add_f64 v[32:33], v[128:129], v[34:35]
	;; [unrolled: 1-line block ×13, first 2 shown]
	v_mul_f64 v[80:81], v[10:11], s[24:25]
	v_mul_f64 v[140:141], v[10:11], s[12:13]
	v_mul_f64 v[164:165], v[10:11], s[40:41]
	v_mul_f64 v[178:179], v[10:11], s[14:15]
	v_mul_f64 v[190:191], v[10:11], s[28:29]
	v_mul_f64 v[10:11], v[10:11], s[16:17]
	v_fma_f64 v[204:205], v[26:27], s[30:31], -v[108:109]
	v_fma_f64 v[108:109], v[26:27], s[30:31], v[108:109]
	v_fma_f64 v[216:217], v[26:27], s[18:19], -v[144:145]
	v_fma_f64 v[20:21], v[26:27], s[18:19], v[144:145]
	v_fma_f64 v[144:145], v[26:27], s[36:37], -v[168:169]
	v_fma_f64 v[162:163], v[26:27], s[36:37], v[168:169]
	v_add_f64 v[2:3], v[2:3], v[68:69]
	v_fma_f64 v[168:169], v[26:27], s[22:23], -v[180:181]
	v_fma_f64 v[172:173], v[26:27], s[22:23], v[180:181]
	v_fma_f64 v[174:175], v[26:27], s[26:27], -v[192:193]
	v_fma_f64 v[176:177], v[26:27], s[26:27], v[192:193]
	;; [unrolled: 2-line block ×3, first 2 shown]
	v_add_f64 v[26:27], v[206:207], v[30:31]
	v_add_f64 v[30:31], v[112:113], v[32:33]
	v_add_f64 v[32:33], v[218:219], v[34:35]
	v_add_f64 v[22:23], v[148:149], v[22:23]
	v_add_f64 v[34:35], v[188:189], v[74:75]
	v_add_f64 v[74:75], v[182:183], v[128:129]
	v_add_f64 v[112:113], v[194:195], v[132:133]
	v_add_f64 v[128:129], v[170:171], v[136:137]
	v_add_f64 v[132:133], v[198:199], v[158:159]
	v_add_f64 v[136:137], v[200:201], v[160:161]
	v_add_f64 v[14:15], v[14:15], v[16:17]
	v_add_f64 v[8:9], v[210:211], v[8:9]
	v_fma_f64 v[202:203], v[24:25], s[26:27], -v[80:81]
	v_fma_f64 v[80:81], v[24:25], s[26:27], v[80:81]
	v_fma_f64 v[214:215], v[24:25], s[30:31], -v[140:141]
	v_add_f64 v[2:3], v[2:3], v[72:73]
	v_fma_f64 v[16:17], v[24:25], s[30:31], v[140:141]
	v_fma_f64 v[140:141], v[24:25], s[22:23], -v[164:165]
	v_fma_f64 v[148:149], v[24:25], s[22:23], v[164:165]
	v_fma_f64 v[158:159], v[24:25], s[34:35], -v[178:179]
	;; [unrolled: 2-line block ×4, first 2 shown]
	v_fma_f64 v[10:11], v[24:25], s[36:37], v[10:11]
	v_add_f64 v[24:25], v[204:205], v[26:27]
	v_add_f64 v[26:27], v[108:109], v[30:31]
	;; [unrolled: 1-line block ×26, first 2 shown]
	v_mul_u32_u24_e32 v12, 52, v104
	v_or_b32_e32 v12, v12, v167
	v_lshl_add_u32 v12, v12, 3, 0
	v_add_f64 v[2:3], v[2:3], v[90:91]
	ds_write2_b64 v12, v[30:31], v[22:23] offset0:8 offset1:12
	ds_write2_b64 v12, v[32:33], v[16:17] offset0:16 offset1:20
	ds_write2_b64 v12, v[24:25], v[14:15] offset0:24 offset1:28
	ds_write2_b64 v12, v[26:27], v[20:21] offset0:32 offset1:36
	ds_write2_b64 v12, v[34:35], v[74:75] offset0:40 offset1:44
	ds_write2_b64 v12, v[2:3], v[10:11] offset1:4
	ds_write_b64 v12, v[8:9] offset:384
.LBB0_31:
	s_or_b32 exec_lo, exec_lo, s1
	v_add_f64 v[2:3], v[4:5], v[138:139]
	v_add_f64 v[14:15], v[138:139], v[18:19]
	v_add_f64 v[16:17], v[134:135], -v[142:143]
	v_add_f64 v[20:21], v[130:131], v[36:37]
	v_add_f64 v[24:25], v[110:111], v[28:29]
	v_add_f64 v[32:33], v[118:119], -v[116:117]
	v_add_f64 v[74:75], v[114:115], -v[98:99]
	;; [unrolled: 1-line block ×4, first 2 shown]
	v_add_f64 v[34:35], v[96:97], v[40:41]
	v_add_f64 v[30:31], v[106:107], v[38:39]
	;; [unrolled: 1-line block ×3, first 2 shown]
	v_add_f64 v[92:93], v[6:7], -v[92:93]
	v_add_nc_u32_e32 v80, 0x800, v147
	v_add_nc_u32_e32 v81, 0x1000, v147
	s_waitcnt lgkmcnt(0)
	s_barrier
	buffer_gl0_inv
	ds_read2_b64 v[10:13], v147 offset1:52
	ds_read2_b64 v[6:9], v147 offset0:104 offset1:156
	v_add_f64 v[2:3], v[2:3], v[130:131]
	v_mul_f64 v[108:109], v[14:15], s[18:19]
	v_mul_f64 v[112:113], v[14:15], s[26:27]
	;; [unrolled: 1-line block ×21, first 2 shown]
	v_add_f64 v[2:3], v[2:3], v[110:111]
	v_mul_f64 v[110:111], v[14:15], s[22:23]
	v_mul_f64 v[14:15], v[14:15], s[36:37]
	v_fma_f64 v[178:179], v[16:17], s[28:29], v[108:109]
	v_fma_f64 v[182:183], v[16:17], s[24:25], v[112:113]
	;; [unrolled: 1-line block ×19, first 2 shown]
	v_add_f64 v[2:3], v[2:3], v[106:107]
	v_fma_f64 v[180:181], v[16:17], s[40:41], v[110:111]
	v_fma_f64 v[110:111], v[16:17], s[6:7], v[110:111]
	;; [unrolled: 1-line block ×8, first 2 shown]
	v_add_f64 v[116:117], v[4:5], v[116:117]
	v_mul_f64 v[106:107], v[30:31], s[18:19]
	v_mul_f64 v[30:31], v[30:31], s[22:23]
	;; [unrolled: 1-line block ×7, first 2 shown]
	v_fma_f64 v[206:207], v[32:33], s[24:25], v[142:143]
	v_fma_f64 v[142:143], v[32:33], s[10:11], v[142:143]
	;; [unrolled: 1-line block ×3, first 2 shown]
	v_mul_f64 v[170:171], v[98:99], s[18:19]
	v_mul_f64 v[172:173], v[98:99], s[34:35]
	v_add_f64 v[2:3], v[2:3], v[96:97]
	v_fma_f64 v[96:97], v[16:17], s[10:11], v[112:113]
	v_fma_f64 v[112:113], v[16:17], s[38:39], v[114:115]
	;; [unrolled: 1-line block ×7, first 2 shown]
	v_add_f64 v[110:111], v[4:5], v[110:111]
	v_add_f64 v[14:15], v[4:5], v[14:15]
	v_mul_f64 v[168:169], v[98:99], s[36:37]
	v_mul_f64 v[174:175], v[98:99], s[22:23]
	;; [unrolled: 1-line block ×4, first 2 shown]
	v_add_f64 v[2:3], v[2:3], v[94:95]
	v_fma_f64 v[94:95], v[26:27], s[42:43], v[130:131]
	v_fma_f64 v[130:131], v[26:27], s[16:17], v[130:131]
	v_add_f64 v[26:27], v[4:5], v[178:179]
	v_add_f64 v[178:179], v[4:5], v[180:181]
	;; [unrolled: 1-line block ×12, first 2 shown]
	v_fma_f64 v[108:109], v[32:33], s[12:13], v[138:139]
	v_fma_f64 v[186:187], v[32:33], s[4:5], v[106:107]
	;; [unrolled: 1-line block ×6, first 2 shown]
	v_add_f64 v[2:3], v[2:3], v[84:85]
	v_fma_f64 v[84:85], v[32:33], s[38:39], v[138:139]
	v_fma_f64 v[138:139], v[32:33], s[14:15], v[140:141]
	v_add_f64 v[16:17], v[16:17], v[26:27]
	v_add_f64 v[26:27], v[188:189], v[178:179]
	;; [unrolled: 1-line block ×9, first 2 shown]
	v_fma_f64 v[140:141], v[32:33], s[20:21], v[140:141]
	v_add_f64 v[14:15], v[24:25], v[14:15]
	v_add_f64 v[20:21], v[136:137], v[20:21]
	v_fma_f64 v[118:119], v[74:75], s[14:15], v[148:149]
	v_fma_f64 v[122:123], v[74:75], s[10:11], v[158:159]
	;; [unrolled: 1-line block ×3, first 2 shown]
	v_add_f64 v[2:3], v[2:3], v[40:41]
	v_fma_f64 v[40:41], v[32:33], s[42:43], v[144:145]
	v_fma_f64 v[32:33], v[74:75], s[20:21], v[148:149]
	v_add_f64 v[16:17], v[22:23], v[16:17]
	v_add_f64 v[22:23], v[94:95], v[26:27]
	;; [unrolled: 1-line block ×10, first 2 shown]
	v_fma_f64 v[144:145], v[74:75], s[40:41], v[160:161]
	v_fma_f64 v[148:149], v[74:75], s[6:7], v[160:161]
	;; [unrolled: 1-line block ×7, first 2 shown]
	v_add_f64 v[14:15], v[30:31], v[14:15]
	v_fma_f64 v[132:133], v[92:93], s[42:43], v[168:169]
	v_add_f64 v[2:3], v[2:3], v[38:39]
	v_fma_f64 v[38:39], v[74:75], s[16:17], v[162:163]
	v_add_f64 v[20:21], v[40:41], v[20:21]
	v_add_f64 v[16:17], v[84:85], v[16:17]
	;; [unrolled: 1-line block ×11, first 2 shown]
	v_fma_f64 v[106:107], v[92:93], s[20:21], v[172:173]
	v_fma_f64 v[134:135], v[92:93], s[16:17], v[168:169]
	;; [unrolled: 1-line block ×9, first 2 shown]
	v_add_f64 v[2:3], v[2:3], v[28:29]
	v_fma_f64 v[28:29], v[92:93], s[28:29], v[170:171]
	v_add_f64 v[20:21], v[128:129], v[20:21]
	v_add_f64 v[142:143], v[32:33], v[16:17]
	;; [unrolled: 1-line block ×12, first 2 shown]
	v_add_nc_u32_e32 v84, 0x400, v147
	v_add_nc_u32_e32 v92, 0x1400, v147
	;; [unrolled: 1-line block ×3, first 2 shown]
	v_add_f64 v[124:125], v[2:3], v[36:37]
	ds_read_b64 v[74:75], v147 offset:8320
	ds_read2_b64 v[38:41], v80 offset0:56 offset1:108
	ds_read2_b64 v[14:17], v80 offset0:160 offset1:212
	ds_read2_b64 v[34:37], v81 offset0:112 offset1:164
	ds_read2_b64 v[2:5], v92 offset0:88 offset1:140
	ds_read2_b64 v[30:33], v85 offset0:168 offset1:220
	v_add_f64 v[128:129], v[132:133], v[142:143]
	v_add_f64 v[130:131], v[136:137], v[22:23]
	;; [unrolled: 1-line block ×13, first 2 shown]
	ds_read2_b64 v[26:29], v84 offset0:80 offset1:132
	ds_read2_b64 v[22:25], v81 offset0:8 offset1:60
	ds_read2_b64 v[18:21], v85 offset0:64 offset1:116
	s_waitcnt lgkmcnt(0)
	s_barrier
	buffer_gl0_inv
	ds_write2_b64 v105, v[130:131], v[106:107] offset0:8 offset1:12
	ds_write2_b64 v105, v[114:115], v[95:96] offset0:16 offset1:20
	;; [unrolled: 1-line block ×5, first 2 shown]
	ds_write2_b64 v105, v[116:117], v[128:129] offset1:4
	ds_write_b64 v105, v[118:119] offset:384
	s_and_saveexec_b32 s33, s0
	s_cbranch_execz .LBB0_33
; %bb.32:
	v_add_f64 v[93:94], v[0:1], v[88:89]
	v_add_f64 v[86:87], v[86:87], -v[90:91]
	v_add_f64 v[54:55], v[54:55], -v[58:59]
	v_add_f64 v[88:89], v[88:89], v[44:45]
	v_add_f64 v[64:65], v[82:83], -v[64:65]
	v_add_f64 v[82:83], v[56:57], v[70:71]
	s_mov_b32 s30, 0xe00740e9
	s_mov_b32 s34, 0x1ea71119
	;; [unrolled: 1-line block ×12, first 2 shown]
	v_add_f64 v[95:96], v[60:61], v[62:63]
	v_add_f64 v[78:79], v[100:101], -v[78:79]
	v_add_f64 v[72:73], v[76:77], -v[72:73]
	v_add_f64 v[76:77], v[52:53], v[42:43]
	v_add_f64 v[90:91], v[93:94], v[102:103]
	;; [unrolled: 1-line block ×3, first 2 shown]
	s_mov_b32 s0, 0x4267c47c
	v_mul_f64 v[97:98], v[88:89], s[16:17]
	v_mul_f64 v[99:100], v[88:89], s[36:37]
	;; [unrolled: 1-line block ×3, first 2 shown]
	s_mov_b32 s6, 0x42a4c3d2
	s_mov_b32 s10, 0x66966769
	;; [unrolled: 1-line block ×16, first 2 shown]
	v_add_f64 v[58:59], v[90:91], v[60:61]
	v_mul_f64 v[60:61], v[88:89], s[30:31]
	v_mul_f64 v[90:91], v[88:89], s[34:35]
	;; [unrolled: 1-line block ×3, first 2 shown]
	s_mov_b32 s14, s10
	s_mov_b32 s18, s20
	;; [unrolled: 1-line block ×7, first 2 shown]
	v_mul_f64 v[105:106], v[93:94], s[34:35]
	v_mul_f64 v[107:108], v[93:94], s[36:37]
	;; [unrolled: 1-line block ×3, first 2 shown]
	v_fma_f64 v[168:169], v[86:87], s[10:11], v[97:98]
	v_mul_f64 v[111:112], v[93:94], s[38:39]
	v_mul_f64 v[113:114], v[93:94], s[16:17]
	v_fma_f64 v[97:98], v[86:87], s[14:15], v[97:98]
	v_fma_f64 v[170:171], v[86:87], s[20:21], v[99:100]
	;; [unrolled: 1-line block ×4, first 2 shown]
	v_add_f64 v[66:67], v[66:67], -v[68:69]
	v_add_f64 v[56:57], v[58:59], v[56:57]
	v_fma_f64 v[164:165], v[86:87], s[0:1], v[60:61]
	v_add_f64 v[68:69], v[50:51], v[48:49]
	v_mul_f64 v[93:94], v[93:94], s[30:31]
	v_fma_f64 v[101:102], v[86:87], s[22:23], v[101:102]
	v_fma_f64 v[174:175], v[86:87], s[28:29], v[88:89]
	v_mul_f64 v[115:116], v[95:96], s[16:17]
	v_mul_f64 v[117:118], v[95:96], s[40:41]
	;; [unrolled: 1-line block ×6, first 2 shown]
	v_fma_f64 v[176:177], v[78:79], s[20:21], v[107:108]
	v_fma_f64 v[107:108], v[78:79], s[18:19], v[107:108]
	;; [unrolled: 1-line block ×3, first 2 shown]
	v_add_f64 v[168:169], v[0:1], v[168:169]
	v_fma_f64 v[109:110], v[78:79], s[26:27], v[109:110]
	v_fma_f64 v[180:181], v[78:79], s[22:23], v[111:112]
	;; [unrolled: 1-line block ×4, first 2 shown]
	v_add_f64 v[97:98], v[0:1], v[97:98]
	v_add_f64 v[170:171], v[0:1], v[170:171]
	;; [unrolled: 1-line block ×3, first 2 shown]
	v_fma_f64 v[56:57], v[86:87], s[4:5], v[60:61]
	v_fma_f64 v[60:61], v[86:87], s[6:7], v[90:91]
	;; [unrolled: 1-line block ×5, first 2 shown]
	v_add_f64 v[164:165], v[0:1], v[164:165]
	v_add_f64 v[99:100], v[0:1], v[99:100]
	;; [unrolled: 1-line block ×3, first 2 shown]
	v_fma_f64 v[105:106], v[78:79], s[12:13], v[105:106]
	v_fma_f64 v[113:114], v[78:79], s[10:11], v[113:114]
	v_add_f64 v[174:175], v[0:1], v[174:175]
	v_add_f64 v[101:102], v[0:1], v[101:102]
	v_mul_f64 v[123:124], v[82:83], s[36:37]
	v_mul_f64 v[125:126], v[82:83], s[38:39]
	;; [unrolled: 1-line block ×3, first 2 shown]
	v_fma_f64 v[184:185], v[64:65], s[28:29], v[117:118]
	v_fma_f64 v[186:187], v[64:65], s[18:19], v[119:120]
	v_mul_f64 v[129:130], v[82:83], s[16:17]
	v_mul_f64 v[131:132], v[82:83], s[40:41]
	v_fma_f64 v[117:118], v[64:65], s[26:27], v[117:118]
	v_fma_f64 v[188:189], v[64:65], s[4:5], v[58:59]
	v_add_f64 v[50:51], v[52:53], v[50:51]
	v_fma_f64 v[52:53], v[78:79], s[4:5], v[93:94]
	v_add_f64 v[60:61], v[0:1], v[60:61]
	v_add_f64 v[90:91], v[0:1], v[90:91]
	v_fma_f64 v[78:79], v[78:79], s[0:1], v[93:94]
	v_add_f64 v[86:87], v[0:1], v[86:87]
	;; [unrolled: 3-line block ×3, first 2 shown]
	v_add_f64 v[97:98], v[109:110], v[97:98]
	v_add_f64 v[109:110], v[180:181], v[170:171]
	v_add_f64 v[99:100], v[111:112], v[99:100]
	v_add_f64 v[111:112], v[182:183], v[172:173]
	v_mul_f64 v[82:83], v[82:83], s[34:35]
	v_fma_f64 v[115:116], v[64:65], s[14:15], v[115:116]
	v_fma_f64 v[119:120], v[64:65], s[20:21], v[119:120]
	v_fma_f64 v[58:59], v[64:65], s[0:1], v[58:59]
	v_fma_f64 v[190:191], v[64:65], s[24:25], v[95:96]
	v_add_f64 v[101:102], v[113:114], v[101:102]
	v_mul_f64 v[135:136], v[76:77], s[16:17]
	v_mul_f64 v[137:138], v[76:77], s[34:35]
	v_fma_f64 v[56:57], v[72:73], s[18:19], v[123:124]
	v_add_f64 v[48:49], v[50:51], v[48:49]
	v_fma_f64 v[50:51], v[64:65], s[6:7], v[121:122]
	v_add_f64 v[60:61], v[176:177], v[60:61]
	v_add_f64 v[90:91], v[107:108], v[90:91]
	;; [unrolled: 1-line block ×3, first 2 shown]
	v_fma_f64 v[121:122], v[64:65], s[12:13], v[121:122]
	v_fma_f64 v[64:65], v[64:65], s[22:23], v[95:96]
	v_add_f64 v[52:53], v[52:53], v[174:175]
	v_add_f64 v[78:79], v[78:79], v[86:87]
	;; [unrolled: 1-line block ×3, first 2 shown]
	v_fma_f64 v[95:96], v[72:73], s[20:21], v[123:124]
	v_fma_f64 v[123:124], v[72:73], s[22:23], v[125:126]
	;; [unrolled: 1-line block ×3, first 2 shown]
	v_add_f64 v[88:89], v[93:94], v[88:89]
	v_mul_f64 v[133:134], v[76:77], s[38:39]
	v_mul_f64 v[139:140], v[76:77], s[40:41]
	;; [unrolled: 1-line block ×3, first 2 shown]
	v_fma_f64 v[125:126], v[72:73], s[24:25], v[125:126]
	v_fma_f64 v[86:87], v[72:73], s[10:11], v[129:130]
	v_mul_f64 v[76:77], v[76:77], s[36:37]
	v_fma_f64 v[113:114], v[72:73], s[14:15], v[129:130]
	v_fma_f64 v[129:130], v[72:73], s[28:29], v[131:132]
	v_add_f64 v[42:43], v[48:49], v[42:43]
	v_fma_f64 v[48:49], v[72:73], s[0:1], v[127:128]
	v_add_f64 v[60:61], v[184:185], v[60:61]
	;; [unrolled: 2-line block ×3, first 2 shown]
	v_add_f64 v[90:91], v[117:118], v[90:91]
	v_add_f64 v[107:108], v[188:189], v[109:110]
	;; [unrolled: 1-line block ×3, first 2 shown]
	v_fma_f64 v[105:106], v[72:73], s[12:13], v[82:83]
	v_fma_f64 v[72:73], v[72:73], s[6:7], v[82:83]
	v_add_f64 v[52:53], v[190:191], v[52:53]
	v_add_f64 v[64:65], v[64:65], v[78:79]
	;; [unrolled: 1-line block ×6, first 2 shown]
	v_mul_f64 v[148:149], v[68:69], s[30:31]
	v_mul_f64 v[158:159], v[68:69], s[38:39]
	v_fma_f64 v[131:132], v[66:67], s[14:15], v[135:136]
	v_fma_f64 v[78:79], v[66:67], s[6:7], v[137:138]
	v_mul_f64 v[143:144], v[68:69], s[40:41]
	v_mul_f64 v[160:161], v[68:69], s[34:35]
	v_add_f64 v[42:43], v[42:43], v[70:71]
	v_mul_f64 v[162:163], v[68:69], s[36:37]
	v_add_f64 v[60:61], v[123:124], v[60:61]
	v_fma_f64 v[82:83], v[66:67], s[24:25], v[133:134]
	v_add_f64 v[93:94], v[192:193], v[93:94]
	v_fma_f64 v[70:71], v[66:67], s[10:11], v[135:136]
	v_fma_f64 v[109:110], v[66:67], s[26:27], v[139:140]
	;; [unrolled: 1-line block ×3, first 2 shown]
	v_add_f64 v[88:89], v[95:96], v[88:89]
	v_add_f64 v[90:91], v[125:126], v[90:91]
	;; [unrolled: 1-line block ×4, first 2 shown]
	v_fma_f64 v[119:120], v[66:67], s[20:21], v[76:77]
	v_fma_f64 v[76:77], v[66:67], s[18:19], v[76:77]
	v_add_f64 v[52:53], v[105:106], v[52:53]
	v_add_f64 v[64:65], v[72:73], v[64:65]
	v_fma_f64 v[111:112], v[66:67], s[28:29], v[139:140]
	v_fma_f64 v[117:118], v[66:67], s[0:1], v[141:142]
	v_add_f64 v[58:59], v[113:114], v[58:59]
	v_add_f64 v[95:96], v[129:130], v[99:100]
	v_fma_f64 v[101:102], v[66:67], s[12:13], v[137:138]
	v_add_f64 v[48:49], v[48:49], v[97:98]
	v_add_f64 v[42:43], v[42:43], v[62:63]
	v_mul_f64 v[62:63], v[68:69], s[16:17]
	v_fma_f64 v[66:67], v[66:67], s[22:23], v[133:134]
	v_add_f64 v[0:1], v[56:57], v[0:1]
	v_fma_f64 v[72:73], v[54:55], s[4:5], v[148:149]
	v_fma_f64 v[56:57], v[54:55], s[24:25], v[158:159]
	v_add_f64 v[60:61], v[131:132], v[60:61]
	v_add_f64 v[78:79], v[78:79], v[93:94]
	v_fma_f64 v[68:69], v[54:55], s[28:29], v[143:144]
	v_fma_f64 v[97:98], v[54:55], s[0:1], v[148:149]
	;; [unrolled: 1-line block ×4, first 2 shown]
	v_add_f64 v[82:83], v[82:83], v[88:89]
	v_add_f64 v[70:71], v[70:71], v[90:91]
	;; [unrolled: 1-line block ×6, first 2 shown]
	v_fma_f64 v[105:106], v[54:55], s[6:7], v[160:161]
	v_add_f64 v[58:59], v[111:112], v[58:59]
	v_add_f64 v[88:89], v[117:118], v[95:96]
	v_fma_f64 v[76:77], v[54:55], s[18:19], v[162:163]
	v_add_f64 v[42:43], v[42:43], v[46:47]
	v_fma_f64 v[46:47], v[54:55], s[14:15], v[62:63]
	v_fma_f64 v[62:63], v[54:55], s[10:11], v[62:63]
	v_add_f64 v[48:49], v[101:102], v[48:49]
	v_fma_f64 v[90:91], v[54:55], s[22:23], v[158:159]
	v_fma_f64 v[54:55], v[54:55], s[26:27], v[143:144]
	v_add_f64 v[0:1], v[66:67], v[0:1]
	v_add_f64 v[60:61], v[72:73], v[60:61]
	;; [unrolled: 1-line block ×13, first 2 shown]
	v_mul_u32_u24_e32 v44, 52, v104
	v_add_f64 v[0:1], v[54:55], v[0:1]
	v_or_b32_e32 v44, v44, v167
	v_lshl_add_u32 v44, v44, 3, 0
	ds_write2_b64 v44, v[60:61], v[56:57] offset0:8 offset1:12
	ds_write2_b64 v44, v[70:71], v[50:51] offset0:16 offset1:20
	;; [unrolled: 1-line block ×5, first 2 shown]
	ds_write2_b64 v44, v[42:43], v[66:67] offset1:4
	ds_write_b64 v44, v[0:1] offset:384
.LBB0_33:
	s_or_b32 exec_lo, exec_lo, s33
	v_mul_u32_u24_e32 v0, 6, v146
	v_and_b32_e32 v1, 0xff, v151
	s_waitcnt lgkmcnt(0)
	s_barrier
	buffer_gl0_inv
	v_lshlrev_b32_e32 v0, 4, v0
	s_mov_b32 s10, 0x37e14327
	s_mov_b32 s16, 0xe976ee23
	;; [unrolled: 1-line block ×4, first 2 shown]
	s_clause 0x5
	global_load_dwordx4 v[58:61], v0, s[8:9] offset:800
	global_load_dwordx4 v[54:57], v0, s[8:9] offset:816
	;; [unrolled: 1-line block ×6, first 2 shown]
	v_mul_lo_u16 v0, 0x4f, v1
	s_mov_b32 s4, 0x36b3c0b5
	s_mov_b32 s6, 0x429ad128
	;; [unrolled: 1-line block ×4, first 2 shown]
	v_lshrrev_b16 v0, 12, v0
	s_mov_b32 s14, 0x5476071b
	s_mov_b32 s18, 0xb247c609
	;; [unrolled: 1-line block ×4, first 2 shown]
	v_mul_lo_u16 v0, v0, 52
	s_mov_b32 s19, 0xbfd5d0dc
	s_mov_b32 s21, 0x3fd5d0dc
	;; [unrolled: 1-line block ×4, first 2 shown]
	v_sub_nc_u16 v0, v151, v0
	s_mov_b32 s0, 0xaaaaaaaa
	s_mov_b32 s22, 0x37c3f68c
	;; [unrolled: 1-line block ×4, first 2 shown]
	v_and_b32_e32 v82, 0xff, v0
	v_mul_u32_u24_e32 v0, 6, v82
	v_lshl_add_u32 v145, v82, 3, 0
	v_lshlrev_b32_e32 v0, 4, v0
	v_add_nc_u32_e32 v151, 0x1400, v145
	v_add_nc_u32_e32 v185, 0x1800, v145
	s_clause 0x5
	global_load_dwordx4 v[76:79], v0, s[8:9] offset:800
	global_load_dwordx4 v[86:89], v0, s[8:9] offset:816
	;; [unrolled: 1-line block ×6, first 2 shown]
	ds_read2_b64 v[62:65], v147 offset1:52
	ds_read2_b64 v[42:45], v147 offset0:104 offset1:156
	ds_read2_b64 v[109:112], v80 offset0:56 offset1:108
	;; [unrolled: 1-line block ×9, first 2 shown]
	ds_read_b64 v[0:1], v147 offset:8320
	s_waitcnt vmcnt(0) lgkmcnt(0)
	s_barrier
	buffer_gl0_inv
	v_mul_f64 v[82:83], v[44:45], v[60:61]
	v_mul_f64 v[90:91], v[8:9], v[60:61]
	;; [unrolled: 1-line block ×24, first 2 shown]
	v_fma_f64 v[8:9], v[8:9], v[58:59], v[82:83]
	v_fma_f64 v[44:45], v[44:45], v[58:59], -v[90:91]
	v_fma_f64 v[38:39], v[38:39], v[54:55], v[141:142]
	v_fma_f64 v[82:83], v[109:110], v[54:55], -v[143:144]
	;; [unrolled: 2-line block ×12, first 2 shown]
	v_mul_f64 v[56:57], v[131:132], v[78:79]
	v_mul_f64 v[60:61], v[28:29], v[78:79]
	;; [unrolled: 1-line block ×12, first 2 shown]
	v_add_f64 v[111:112], v[8:9], v[30:31]
	v_add_f64 v[119:120], v[44:45], v[117:118]
	v_add_f64 v[8:9], v[8:9], -v[30:31]
	v_add_f64 v[30:31], v[44:45], -v[117:118]
	v_add_f64 v[44:45], v[38:39], v[4:5]
	v_add_f64 v[117:118], v[82:83], v[115:116]
	v_add_f64 v[4:5], v[38:39], -v[4:5]
	v_add_f64 v[38:39], v[82:83], -v[115:116]
	;; [unrolled: 4-line block ×6, first 2 shown]
	v_fma_f64 v[28:29], v[28:29], v[76:77], v[56:57]
	v_fma_f64 v[46:47], v[131:132], v[76:77], -v[60:61]
	v_fma_f64 v[14:15], v[14:15], v[86:87], v[66:67]
	v_fma_f64 v[50:51], v[113:114], v[86:87], -v[68:69]
	v_fma_f64 v[20:21], v[20:21], v[101:102], v[95:96]
	v_fma_f64 v[68:69], v[74:75], v[105:106], v[103:104]
	v_fma_f64 v[0:1], v[0:1], v[105:106], -v[107:108]
	v_fma_f64 v[24:25], v[24:25], v[93:94], v[70:71]
	v_fma_f64 v[56:57], v[135:136], v[93:94], -v[72:73]
	;; [unrolled: 2-line block ×3, first 2 shown]
	v_fma_f64 v[66:67], v[139:140], v[101:102], -v[99:100]
	v_add_f64 v[72:73], v[117:118], v[119:120]
	v_add_f64 v[76:77], v[117:118], -v[119:120]
	v_add_f64 v[88:89], v[115:116], -v[117:118]
	v_add_f64 v[93:94], v[16:17], v[4:5]
	v_add_f64 v[99:100], v[34:35], -v[38:39]
	v_add_f64 v[103:104], v[58:59], v[109:110]
	v_add_f64 v[107:108], v[58:59], -v[109:110]
	v_add_f64 v[109:110], v[109:110], -v[54:55]
	;; [unrolled: 1-line block ×3, first 2 shown]
	v_add_f64 v[70:71], v[44:45], v[111:112]
	v_add_f64 v[74:75], v[44:45], -v[111:112]
	v_add_f64 v[78:79], v[111:112], -v[82:83]
	;; [unrolled: 1-line block ×4, first 2 shown]
	v_add_f64 v[95:96], v[34:35], v[38:39]
	v_add_f64 v[121:122], v[28:29], v[68:69]
	;; [unrolled: 1-line block ×3, first 2 shown]
	v_add_f64 v[0:1], v[46:47], -v[0:1]
	v_add_f64 v[46:47], v[14:15], v[20:21]
	v_add_f64 v[97:98], v[16:17], -v[4:5]
	v_add_f64 v[16:17], v[8:9], -v[16:17]
	;; [unrolled: 1-line block ×4, first 2 shown]
	v_add_f64 v[101:102], v[52:53], v[90:91]
	v_add_f64 v[105:106], v[52:53], -v[90:91]
	v_add_f64 v[52:53], v[48:49], -v[52:53]
	v_add_f64 v[111:112], v[22:23], v[18:19]
	v_add_f64 v[113:114], v[36:37], v[40:41]
	v_add_f64 v[119:120], v[36:37], -v[40:41]
	v_add_f64 v[18:19], v[18:19], -v[26:27]
	v_add_f64 v[40:41], v[40:41], -v[32:33]
	v_add_f64 v[28:29], v[28:29], -v[68:69]
	v_add_f64 v[68:69], v[50:51], v[66:67]
	v_add_f64 v[14:15], v[14:15], -v[20:21]
	v_add_f64 v[20:21], v[50:51], -v[66:67]
	v_add_f64 v[50:51], v[24:25], v[2:3]
	v_add_f64 v[2:3], v[2:3], -v[24:25]
	v_add_f64 v[24:25], v[60:61], -v[56:57]
	v_add_f64 v[8:9], v[93:94], v[8:9]
	v_mul_f64 v[93:94], v[99:100], s[16:17]
	v_mul_f64 v[99:100], v[109:110], s[10:11]
	;; [unrolled: 1-line block ×3, first 2 shown]
	v_add_f64 v[117:118], v[46:47], v[121:122]
	v_add_f64 v[90:91], v[90:91], -v[48:49]
	v_add_f64 v[34:35], v[30:31], -v[34:35]
	;; [unrolled: 1-line block ×5, first 2 shown]
	v_add_f64 v[66:67], v[56:57], v[60:61]
	v_add_f64 v[56:57], v[82:83], v[70:71]
	;; [unrolled: 1-line block ×4, first 2 shown]
	v_mul_f64 v[70:71], v[78:79], s[10:11]
	v_mul_f64 v[72:73], v[86:87], s[10:11]
	;; [unrolled: 1-line block ×7, first 2 shown]
	v_add_f64 v[48:49], v[48:49], v[101:102]
	v_add_f64 v[54:55], v[54:55], v[103:104]
	;; [unrolled: 1-line block ×4, first 2 shown]
	v_mul_f64 v[101:102], v[52:53], s[4:5]
	v_mul_f64 v[111:112], v[119:120], s[16:17]
	;; [unrolled: 1-line block ×4, first 2 shown]
	v_add_f64 v[119:120], v[68:69], v[123:124]
	v_add_f64 v[125:126], v[46:47], -v[121:122]
	v_add_f64 v[121:122], v[121:122], -v[50:51]
	v_add_f64 v[46:47], v[50:51], -v[46:47]
	v_add_f64 v[135:136], v[24:25], -v[20:21]
	v_add_f64 v[50:51], v[50:51], v[117:118]
	v_mul_f64 v[90:91], v[90:91], s[10:11]
	v_add_f64 v[131:132], v[24:25], v[20:21]
	v_add_f64 v[20:21], v[20:21], -v[0:1]
	v_mul_f64 v[103:104], v[58:59], s[4:5]
	v_add_f64 v[127:128], v[68:69], -v[123:124]
	v_add_f64 v[123:124], v[123:124], -v[66:67]
	;; [unrolled: 1-line block ×3, first 2 shown]
	v_add_f64 v[129:130], v[2:3], v[14:15]
	v_add_f64 v[133:134], v[2:3], -v[14:15]
	v_add_f64 v[24:25], v[0:1], -v[24:25]
	;; [unrolled: 1-line block ×3, first 2 shown]
	v_add_f64 v[10:11], v[10:11], v[56:57]
	v_add_f64 v[62:63], v[62:63], v[60:61]
	v_fma_f64 v[44:45], v[44:45], s[4:5], v[70:71]
	v_fma_f64 v[88:89], v[88:89], s[4:5], v[72:73]
	v_fma_f64 v[78:79], v[74:75], s[14:15], -v[78:79]
	v_fma_f64 v[82:83], v[76:77], s[14:15], -v[82:83]
	;; [unrolled: 1-line block ×4, first 2 shown]
	v_fma_f64 v[74:75], v[16:17], s[18:19], v[86:87]
	v_fma_f64 v[76:77], v[34:35], s[18:19], v[93:94]
	v_fma_f64 v[4:5], v[4:5], s[6:7], -v[86:87]
	v_fma_f64 v[38:39], v[38:39], s[6:7], -v[93:94]
	;; [unrolled: 1-line block ×4, first 2 shown]
	v_add_f64 v[12:13], v[12:13], v[48:49]
	v_add_f64 v[86:87], v[64:65], v[54:55]
	v_fma_f64 v[58:59], v[58:59], s[4:5], v[99:100]
	v_fma_f64 v[64:65], v[105:106], s[14:15], -v[101:102]
	v_fma_f64 v[95:96], v[107:108], s[12:13], -v[99:100]
	v_fma_f64 v[97:98], v[22:23], s[18:19], v[109:110]
	v_fma_f64 v[99:100], v[36:37], s[18:19], v[111:112]
	v_fma_f64 v[18:19], v[18:19], s[6:7], -v[109:110]
	v_fma_f64 v[40:41], v[40:41], s[6:7], -v[111:112]
	;; [unrolled: 1-line block ×4, first 2 shown]
	v_add_f64 v[66:67], v[66:67], v[119:120]
	v_mul_f64 v[101:102], v[121:122], s[10:11]
	v_mul_f64 v[111:112], v[135:136], s[16:17]
	v_add_f64 v[6:7], v[6:7], v[50:51]
	v_fma_f64 v[52:53], v[52:53], s[4:5], v[90:91]
	v_fma_f64 v[90:91], v[105:106], s[12:13], -v[90:91]
	v_mul_f64 v[105:106], v[46:47], s[4:5]
	v_mul_f64 v[115:116], v[20:21], s[6:7]
	v_add_f64 v[2:3], v[28:29], -v[2:3]
	v_fma_f64 v[93:94], v[107:108], s[14:15], -v[103:104]
	v_add_f64 v[0:1], v[131:132], v[0:1]
	v_mul_f64 v[103:104], v[123:124], s[10:11]
	v_mul_f64 v[107:108], v[68:69], s[4:5]
	;; [unrolled: 1-line block ×4, first 2 shown]
	v_fma_f64 v[56:57], v[56:57], s[0:1], v[10:11]
	v_fma_f64 v[60:61], v[60:61], s[0:1], v[62:63]
	;; [unrolled: 1-line block ×16, first 2 shown]
	v_add_f64 v[42:43], v[42:43], v[66:67]
	v_fma_f64 v[32:33], v[46:47], s[4:5], v[101:102]
	v_fma_f64 v[99:100], v[24:25], s[18:19], v[111:112]
	v_fma_f64 v[50:51], v[50:51], s[0:1], v[6:7]
	v_fma_f64 v[46:47], v[125:126], s[14:15], -v[105:106]
	v_fma_f64 v[20:21], v[20:21], s[6:7], -v[111:112]
	;; [unrolled: 1-line block ×4, first 2 shown]
	v_add_f64 v[28:29], v[129:130], v[28:29]
	v_fma_f64 v[36:37], v[68:69], s[4:5], v[103:104]
	v_fma_f64 v[68:69], v[127:128], s[14:15], -v[107:108]
	v_fma_f64 v[97:98], v[2:3], s[18:19], v[109:110]
	v_fma_f64 v[14:15], v[14:15], s[6:7], -v[109:110]
	v_fma_f64 v[2:3], v[2:3], s[20:21], -v[113:114]
	v_add_f64 v[44:45], v[44:45], v[56:57]
	v_add_f64 v[88:89], v[88:89], v[60:61]
	v_add_f64 v[70:71], v[70:71], v[56:57]
	v_fma_f64 v[103:104], v[127:128], s[12:13], -v[103:104]
	v_add_f64 v[72:73], v[72:73], v[60:61]
	v_add_f64 v[56:57], v[78:79], v[56:57]
	;; [unrolled: 1-line block ×6, first 2 shown]
	v_fma_f64 v[66:67], v[66:67], s[0:1], v[42:43]
	v_fma_f64 v[90:91], v[0:1], s[22:23], v[99:100]
	v_add_f64 v[32:33], v[32:33], v[50:51]
	v_add_f64 v[58:59], v[58:59], v[34:35]
	;; [unrolled: 1-line block ×4, first 2 shown]
	v_fma_f64 v[20:21], v[0:1], s[22:23], v[20:21]
	v_fma_f64 v[0:1], v[0:1], s[22:23], v[24:25]
	v_add_f64 v[95:96], v[101:102], v[50:51]
	v_add_f64 v[46:47], v[46:47], v[50:51]
	v_fma_f64 v[82:83], v[28:29], s[22:23], v[97:98]
	v_fma_f64 v[14:15], v[28:29], s[22:23], v[14:15]
	v_fma_f64 v[2:3], v[28:29], s[22:23], v[2:3]
	v_add_f64 v[24:25], v[76:77], v[44:45]
	v_add_f64 v[28:29], v[16:17], v[70:71]
	v_add_f64 v[93:94], v[88:89], -v[74:75]
	v_add_f64 v[50:51], v[72:73], -v[8:9]
	v_add_f64 v[97:98], v[56:57], -v[38:39]
	v_add_f64 v[99:100], v[4:5], v[60:61]
	v_add_f64 v[38:39], v[38:39], v[56:57]
	v_add_f64 v[56:57], v[60:61], -v[4:5]
	v_add_f64 v[4:5], v[70:71], -v[16:17]
	v_add_f64 v[60:61], v[8:9], v[72:73]
	v_add_f64 v[16:17], v[54:55], v[52:53]
	;; [unrolled: 1-line block ×3, first 2 shown]
	v_add_f64 v[72:73], v[64:65], -v[40:41]
	v_add_f64 v[40:41], v[40:41], v[64:65]
	v_add_f64 v[26:27], v[30:31], -v[26:27]
	v_add_f64 v[30:31], v[52:53], -v[54:55]
	v_add_f64 v[36:37], v[36:37], v[66:67]
	v_add_f64 v[52:53], v[103:104], v[66:67]
	;; [unrolled: 1-line block ×4, first 2 shown]
	v_add_f64 v[8:9], v[44:45], -v[76:77]
	v_add_f64 v[44:45], v[74:75], v[88:89]
	v_add_f64 v[68:69], v[0:1], v[95:96]
	v_add_f64 v[74:75], v[46:47], -v[20:21]
	v_add_f64 v[20:21], v[20:21], v[46:47]
	v_add_f64 v[0:1], v[95:96], -v[0:1]
	v_add_f64 v[32:33], v[32:33], -v[90:91]
	;; [unrolled: 1-line block ×4, first 2 shown]
	v_add_f64 v[76:77], v[18:19], v[78:79]
	v_add_f64 v[78:79], v[78:79], -v[18:19]
	v_add_f64 v[88:89], v[22:23], v[34:35]
	v_add_f64 v[48:49], v[48:49], v[58:59]
	ds_write2_b64 v147, v[10:11], v[24:25] offset1:52
	ds_write2_b64 v147, v[28:29], v[97:98] offset0:104 offset1:156
	ds_write2_b64 v84, v[38:39], v[4:5] offset0:80 offset1:132
	;; [unrolled: 1-line block ×6, first 2 shown]
	v_add_f64 v[40:41], v[36:37], -v[82:83]
	v_add_f64 v[58:59], v[52:53], -v[2:3]
	v_add_f64 v[70:71], v[14:15], v[54:55]
	v_add_f64 v[54:55], v[54:55], -v[14:15]
	v_add_f64 v[52:53], v[2:3], v[52:53]
	v_add_f64 v[72:73], v[82:83], v[36:37]
	ds_write2_b64 v151, v[6:7], v[64:65] offset0:88 offset1:140
	ds_write2_b64 v185, v[68:69], v[74:75] offset0:64 offset1:116
	;; [unrolled: 1-line block ×3, first 2 shown]
	ds_write_b64 v145, v[32:33] offset:8320
	s_waitcnt lgkmcnt(0)
	s_barrier
	buffer_gl0_inv
	ds_read2_b64 v[0:3], v147 offset1:52
	ds_read2_b64 v[12:15], v80 offset0:56 offset1:108
	ds_read2_b64 v[16:19], v92 offset0:88 offset1:140
	;; [unrolled: 1-line block ×9, first 2 shown]
	ds_read_b64 v[64:65], v147 offset:8320
	s_waitcnt lgkmcnt(0)
	s_barrier
	buffer_gl0_inv
	ds_write2_b64 v147, v[62:63], v[93:94] offset1:52
	ds_write2_b64 v147, v[50:51], v[99:100] offset0:104 offset1:156
	ds_write2_b64 v84, v[56:57], v[60:61] offset0:80 offset1:132
	;; [unrolled: 1-line block ×9, first 2 shown]
	ds_write_b64 v145, v[72:73] offset:8320
	s_waitcnt lgkmcnt(0)
	s_barrier
	buffer_gl0_inv
	s_and_saveexec_b32 s0, vcc_lo
	s_cbranch_execz .LBB0_35
; %bb.34:
	v_mov_b32_e32 v151, 0
	v_add_nc_u32_e32 v159, 0x104, v146
	v_add_nc_u32_e32 v163, 0x138, v146
	;; [unrolled: 1-line block ×4, first 2 shown]
	v_lshlrev_b64 v[40:41], 4, v[150:151]
	v_mov_b32_e32 v158, v151
	v_lshrrev_b32_e32 v127, 2, v166
	v_lshrrev_b32_e32 v128, 2, v159
	;; [unrolled: 1-line block ×3, first 2 shown]
	v_add_nc_u32_e32 v122, 0x1000, v147
	v_add_co_u32 v42, vcc_lo, s8, v40
	v_add_co_ci_u32_e32 v43, vcc_lo, s9, v41, vcc_lo
	v_lshlrev_b64 v[48:49], 4, v[157:158]
	v_add_co_u32 v40, vcc_lo, 0x1000, v42
	v_add_co_ci_u32_e32 v41, vcc_lo, 0, v43, vcc_lo
	v_add_co_u32 v44, vcc_lo, 0x16a0, v42
	v_mov_b32_e32 v157, v151
	v_add_co_ci_u32_e32 v45, vcc_lo, 0, v43, vcc_lo
	v_add_co_u32 v52, vcc_lo, s8, v48
	v_add_co_ci_u32_e32 v53, vcc_lo, s9, v49, vcc_lo
	v_lshlrev_b64 v[48:49], 4, v[156:157]
	v_add_co_u32 v50, vcc_lo, 0x16a0, v52
	v_add_co_ci_u32_e32 v51, vcc_lo, 0, v53, vcc_lo
	v_mov_b32_e32 v156, v151
	v_add_co_u32 v54, vcc_lo, s8, v48
	v_add_co_ci_u32_e32 v55, vcc_lo, s9, v49, vcc_lo
	v_add_co_u32 v48, vcc_lo, 0x1000, v52
	v_add_co_ci_u32_e32 v49, vcc_lo, 0, v53, vcc_lo
	v_add_co_u32 v52, vcc_lo, 0x1000, v54
	v_lshlrev_b64 v[66:67], 4, v[155:156]
	v_add_co_ci_u32_e32 v53, vcc_lo, 0, v55, vcc_lo
	v_add_co_u32 v54, vcc_lo, 0x16a0, v54
	v_mov_b32_e32 v155, v151
	v_add_co_ci_u32_e32 v55, vcc_lo, 0, v55, vcc_lo
	v_add_co_u32 v68, vcc_lo, s8, v66
	v_add_co_ci_u32_e32 v69, vcc_lo, s9, v67, vcc_lo
	v_lshlrev_b64 v[66:67], 4, v[154:155]
	v_add_co_u32 v70, vcc_lo, 0x16a0, v68
	v_add_co_ci_u32_e32 v71, vcc_lo, 0, v69, vcc_lo
	v_mov_b32_e32 v154, v151
	v_add_co_u32 v72, vcc_lo, s8, v66
	v_add_co_ci_u32_e32 v73, vcc_lo, s9, v67, vcc_lo
	v_add_co_u32 v66, vcc_lo, 0x1000, v68
	v_add_co_ci_u32_e32 v67, vcc_lo, 0, v69, vcc_lo
	v_add_co_u32 v74, vcc_lo, 0x1000, v72
	v_lshlrev_b64 v[82:83], 4, v[153:154]
	v_add_co_ci_u32_e32 v75, vcc_lo, 0, v73, vcc_lo
	v_add_co_u32 v78, vcc_lo, 0x16a0, v72
	v_mov_b32_e32 v153, v151
	v_add_co_ci_u32_e32 v79, vcc_lo, 0, v73, vcc_lo
	v_add_co_u32 v84, vcc_lo, s8, v82
	v_add_co_ci_u32_e32 v85, vcc_lo, s9, v83, vcc_lo
	v_lshlrev_b64 v[82:83], 4, v[152:153]
	v_add_co_u32 v86, vcc_lo, 0x16a0, v84
	v_add_co_ci_u32_e32 v87, vcc_lo, 0, v85, vcc_lo
	s_clause 0x1
	global_load_dwordx4 v[40:43], v[40:41], off offset:1696
	global_load_dwordx4 v[44:47], v[44:45], off offset:16
	v_add_co_u32 v88, vcc_lo, s8, v82
	v_add_co_ci_u32_e32 v89, vcc_lo, s9, v83, vcc_lo
	v_add_co_u32 v82, vcc_lo, 0x1000, v84
	v_add_co_ci_u32_e32 v83, vcc_lo, 0, v85, vcc_lo
	;; [unrolled: 2-line block ×4, first 2 shown]
	s_clause 0xb
	global_load_dwordx4 v[56:59], v[48:49], off offset:1696
	global_load_dwordx4 v[60:63], v[50:51], off offset:16
	;; [unrolled: 1-line block ×12, first 2 shown]
	ds_read_b64 v[138:139], v147 offset:8320
	ds_read2_b64 v[98:101], v147 offset0:104 offset1:156
	ds_read2_b64 v[102:105], v147 offset1:52
	s_clause 0x1
	buffer_load_dword v106, off, s[44:47], 0
	buffer_load_dword v107, off, s[44:47], 0 offset:4
	v_add_nc_u32_e32 v114, 0x400, v147
	v_add_nc_u32_e32 v134, 0x1400, v147
	v_mul_hi_u32 v144, 0x5a05a05b, v127
	v_mul_hi_u32 v145, 0x5a05a05b, v128
	;; [unrolled: 1-line block ×3, first 2 shown]
	v_mov_b32_e32 v147, v151
	v_or_b32_e32 v150, 0x340, v146
	s_mov_b32 s0, 0xe8584caa
	s_mov_b32 s1, 0xbfebb67a
	;; [unrolled: 1-line block ×3, first 2 shown]
	v_lshlrev_b64 v[140:141], 4, v[146:147]
	v_lshlrev_b64 v[142:143], 4, v[150:151]
	v_lshrrev_b32_e32 v144, 5, v144
	v_lshrrev_b32_e32 v158, 5, v145
	;; [unrolled: 1-line block ×3, first 2 shown]
	s_mov_b32 s4, s0
	v_mad_u32_u24 v150, 0x2d8, v144, v166
	v_lshlrev_b64 v[156:157], 4, v[150:151]
	v_mad_u32_u24 v150, 0x2d8, v158, v159
	v_lshlrev_b64 v[160:161], 4, v[150:151]
	;; [unrolled: 2-line block ×3, first 2 shown]
	s_waitcnt vmcnt(15)
	v_mul_f64 v[172:173], v[38:39], v[42:43]
	s_waitcnt vmcnt(14)
	v_mul_f64 v[174:175], v[64:65], v[46:47]
	s_waitcnt lgkmcnt(2)
	v_mul_f64 v[46:47], v[138:139], v[46:47]
	s_waitcnt vmcnt(13)
	v_mul_f64 v[176:177], v[36:37], v[58:59]
	s_waitcnt vmcnt(12)
	;; [unrolled: 2-line block ×7, first 2 shown]
	v_mul_f64 v[198:199], v[16:17], v[96:97]
	v_mul_f64 v[192:193], v[20:21], v[84:85]
	s_waitcnt vmcnt(1)
	v_add_co_u32 v168, vcc_lo, s2, v106
	s_waitcnt vmcnt(0)
	v_add_co_ci_u32_e32 v169, vcc_lo, s3, v107, vcc_lo
	ds_read2_b64 v[106:109], v130 offset0:56 offset1:108
	ds_read2_b64 v[110:113], v122 offset0:112 offset1:164
	;; [unrolled: 1-line block ×8, first 2 shown]
	v_mul_f64 v[182:183], v[32:33], v[54:55]
	v_mul_f64 v[186:187], v[26:27], v[72:73]
	;; [unrolled: 1-line block ×4, first 2 shown]
	v_fma_f64 v[138:139], v[44:45], v[138:139], -v[174:175]
	v_add_co_u32 v140, vcc_lo, v168, v140
	v_add_co_ci_u32_e32 v141, vcc_lo, v169, v141, vcc_lo
	v_add_co_u32 v142, vcc_lo, v168, v142
	v_add_co_ci_u32_e32 v143, vcc_lo, v169, v143, vcc_lo
	v_add_co_u32 v144, vcc_lo, 0x1000, v140
	s_waitcnt lgkmcnt(6)
	v_mul_f64 v[42:43], v[112:113], v[42:43]
	v_mul_f64 v[92:93], v[108:109], v[92:93]
	s_waitcnt lgkmcnt(4)
	v_mul_f64 v[62:63], v[120:121], v[62:63]
	s_waitcnt lgkmcnt(3)
	v_mul_f64 v[50:51], v[124:125], v[50:51]
	v_mul_f64 v[68:69], v[122:123], v[68:69]
	s_waitcnt lgkmcnt(0)
	v_mul_f64 v[88:89], v[136:137], v[88:89]
	v_mul_f64 v[96:97], v[134:135], v[96:97]
	;; [unrolled: 1-line block ×8, first 2 shown]
	v_fma_f64 v[112:113], v[40:41], v[112:113], -v[172:173]
	v_add_co_ci_u32_e32 v145, vcc_lo, 0, v141, vcc_lo
	v_add_co_u32 v146, vcc_lo, 0x2800, v140
	v_add_co_ci_u32_e32 v147, vcc_lo, 0, v141, vcc_lo
	v_add_co_u32 v148, vcc_lo, 0x1800, v140
	v_fma_f64 v[38:39], v[38:39], v[40:41], v[42:43]
	v_fma_f64 v[40:41], v[64:65], v[44:45], v[46:47]
	v_fma_f64 v[42:43], v[56:57], v[110:111], -v[176:177]
	v_fma_f64 v[34:35], v[34:35], v[60:61], v[62:63]
	v_fma_f64 v[46:47], v[48:49], v[124:125], -v[180:181]
	;; [unrolled: 2-line block ×3, first 2 shown]
	v_fma_f64 v[28:29], v[28:29], v[66:67], v[68:69]
	v_fma_f64 v[62:63], v[18:19], v[86:87], v[88:89]
	v_fma_f64 v[18:19], v[90:91], v[108:109], -v[196:197]
	v_fma_f64 v[64:65], v[94:95], v[134:135], -v[198:199]
	v_fma_f64 v[14:15], v[14:15], v[90:91], v[92:93]
	v_fma_f64 v[66:67], v[16:17], v[94:95], v[96:97]
	v_fma_f64 v[44:45], v[60:61], v[120:121], -v[178:179]
	v_fma_f64 v[36:37], v[36:37], v[56:57], v[58:59]
	v_fma_f64 v[58:59], v[82:83], v[130:131], -v[192:193]
	v_fma_f64 v[60:61], v[86:87], v[136:137], -v[194:195]
	v_fma_f64 v[20:21], v[20:21], v[82:83], v[84:85]
	v_fma_f64 v[56:57], v[52:53], v[118:119], -v[182:183]
	v_fma_f64 v[32:33], v[32:33], v[52:53], v[54:55]
	v_fma_f64 v[50:51], v[70:71], v[128:129], -v[186:187]
	v_fma_f64 v[52:53], v[74:75], v[132:133], -v[188:189]
	v_fma_f64 v[54:55], v[78:79], v[126:127], -v[190:191]
	v_fma_f64 v[22:23], v[22:23], v[74:75], v[76:77]
	v_fma_f64 v[24:25], v[24:25], v[78:79], v[80:81]
	;; [unrolled: 1-line block ×3, first 2 shown]
	v_add_f64 v[70:71], v[106:107], v[112:113]
	v_add_f64 v[72:73], v[38:39], v[40:41]
	;; [unrolled: 1-line block ×7, first 2 shown]
	v_add_f64 v[68:69], v[38:39], -v[40:41]
	v_add_f64 v[174:175], v[14:15], v[66:67]
	v_add_f64 v[76:77], v[42:43], v[44:45]
	;; [unrolled: 1-line block ×3, first 2 shown]
	v_add_f64 v[84:85], v[42:43], -v[44:45]
	v_add_f64 v[124:125], v[58:59], v[60:61]
	v_add_f64 v[130:131], v[20:21], v[62:63]
	;; [unrolled: 1-line block ×3, first 2 shown]
	v_add_f64 v[92:93], v[46:47], -v[56:57]
	v_add_f64 v[46:47], v[48:49], v[50:51]
	v_add_f64 v[110:111], v[48:49], -v[50:51]
	v_add_f64 v[48:49], v[52:53], v[54:55]
	v_add_f64 v[38:39], v[12:13], v[38:39]
	;; [unrolled: 1-line block ×4, first 2 shown]
	v_add_f64 v[80:81], v[36:37], -v[34:35]
	v_add_f64 v[36:37], v[10:11], v[36:37]
	v_add_f64 v[90:91], v[30:31], v[32:33]
	v_add_f64 v[94:95], v[28:29], -v[26:27]
	v_add_f64 v[28:29], v[6:7], v[28:29]
	v_add_f64 v[122:123], v[4:5], v[22:23]
	;; [unrolled: 1-line block ×5, first 2 shown]
	v_add_f64 v[132:133], v[58:59], -v[60:61]
	v_add_f64 v[58:59], v[2:3], v[20:21]
	v_add_f64 v[118:119], v[98:99], v[52:53]
	v_add_f64 v[74:75], v[112:113], -v[138:139]
	v_add_f64 v[86:87], v[30:31], -v[32:33]
	v_add_f64 v[30:31], v[8:9], v[30:31]
	v_add_f64 v[136:137], v[14:15], -v[66:67]
	v_add_f64 v[176:177], v[18:19], -v[64:65]
	v_add_f64 v[14:15], v[70:71], v[138:139]
	v_fma_f64 v[70:71], v[72:73], -0.5, v[12:13]
	v_add_f64 v[18:19], v[78:79], v[44:45]
	v_fma_f64 v[72:73], v[134:135], -0.5, v[102:103]
	v_fma_f64 v[78:79], v[174:175], -0.5, v[0:1]
	;; [unrolled: 1-line block ×3, first 2 shown]
	v_add_co_ci_u32_e32 v149, vcc_lo, 0, v141, vcc_lo
	v_add_f64 v[126:127], v[20:21], -v[62:63]
	v_fma_f64 v[138:139], v[82:83], -0.5, v[10:11]
	v_add_f64 v[10:11], v[88:89], v[56:57]
	v_fma_f64 v[56:57], v[124:125], -0.5, v[104:105]
	v_fma_f64 v[88:89], v[130:131], -0.5, v[2:3]
	v_add_co_u32 v152, vcc_lo, 0x3000, v140
	v_add_f64 v[112:113], v[22:23], -v[24:25]
	v_add_f64 v[52:53], v[52:53], -v[54:55]
	v_fma_f64 v[48:49], v[48:49], -0.5, v[98:99]
	v_fma_f64 v[82:83], v[120:121], -0.5, v[4:5]
	v_add_co_ci_u32_e32 v153, vcc_lo, 0, v141, vcc_lo
	v_add_co_u32 v154, vcc_lo, 0x800, v140
	v_fma_f64 v[116:117], v[76:77], -0.5, v[116:117]
	v_fma_f64 v[44:45], v[46:47], -0.5, v[100:101]
	;; [unrolled: 1-line block ×3, first 2 shown]
	v_add_co_ci_u32_e32 v155, vcc_lo, 0, v141, vcc_lo
	v_add_co_u32 v158, vcc_lo, 0x2000, v140
	v_add_f64 v[12:13], v[38:39], v[40:41]
	v_add_f64 v[16:17], v[36:37], v[34:35]
	v_fma_f64 v[36:37], v[42:43], -0.5, v[114:115]
	v_fma_f64 v[40:41], v[90:91], -0.5, v[8:9]
	v_add_co_ci_u32_e32 v159, vcc_lo, 0, v141, vcc_lo
	v_add_co_u32 v156, vcc_lo, v168, v156
	v_add_co_ci_u32_e32 v157, vcc_lo, v169, v157, vcc_lo
	v_add_f64 v[20:21], v[28:29], v[26:27]
	v_add_co_u32 v162, vcc_lo, 0x1000, v156
	v_add_f64 v[4:5], v[122:123], v[24:25]
	v_add_f64 v[26:27], v[172:173], v[64:65]
	;; [unrolled: 1-line block ×3, first 2 shown]
	v_add_co_ci_u32_e32 v163, vcc_lo, 0, v157, vcc_lo
	v_add_f64 v[2:3], v[128:129], v[60:61]
	v_add_f64 v[0:1], v[58:59], v[62:63]
	v_add_co_u32 v160, vcc_lo, v168, v160
	v_add_f64 v[6:7], v[118:119], v[54:55]
	v_add_f64 v[22:23], v[96:97], v[50:51]
	v_add_co_ci_u32_e32 v161, vcc_lo, v169, v161, vcc_lo
	v_add_f64 v[8:9], v[30:31], v[32:33]
	v_fma_f64 v[28:29], v[74:75], s[4:5], v[70:71]
	v_fma_f64 v[32:33], v[74:75], s[0:1], v[70:71]
	;; [unrolled: 1-line block ×5, first 2 shown]
	v_add_co_u32 v164, vcc_lo, 0x2800, v156
	v_fma_f64 v[30:31], v[68:69], s[0:1], v[106:107]
	v_fma_f64 v[34:35], v[68:69], s[4:5], v[106:107]
	;; [unrolled: 1-line block ×5, first 2 shown]
	v_add_co_ci_u32_e32 v165, vcc_lo, 0, v157, vcc_lo
	v_fma_f64 v[62:63], v[126:127], s[0:1], v[56:57]
	v_fma_f64 v[60:61], v[132:133], s[4:5], v[88:89]
	v_add_co_u32 v166, vcc_lo, 0x1000, v160
	v_fma_f64 v[58:59], v[112:113], s[4:5], v[48:49]
	v_fma_f64 v[56:57], v[52:53], s[0:1], v[82:83]
	;; [unrolled: 1-line block ×4, first 2 shown]
	v_add_co_ci_u32_e32 v167, vcc_lo, 0, v161, vcc_lo
	v_fma_f64 v[50:51], v[94:95], s[4:5], v[44:45]
	v_fma_f64 v[48:49], v[110:111], s[0:1], v[76:77]
	v_add_co_u32 v150, vcc_lo, v168, v150
	v_fma_f64 v[46:47], v[94:95], s[0:1], v[44:45]
	v_fma_f64 v[44:45], v[110:111], s[4:5], v[76:77]
	v_add_co_ci_u32_e32 v151, vcc_lo, v169, v151, vcc_lo
	v_fma_f64 v[78:79], v[86:87], s[4:5], v[36:37]
	v_fma_f64 v[76:77], v[92:93], s[0:1], v[40:41]
	v_add_co_u32 v168, vcc_lo, 0x2800, v160
	v_fma_f64 v[42:43], v[86:87], s[0:1], v[36:37]
	v_fma_f64 v[40:41], v[92:93], s[4:5], v[40:41]
	v_add_co_ci_u32_e32 v169, vcc_lo, 0, v161, vcc_lo
	v_fma_f64 v[38:39], v[80:81], s[0:1], v[116:117]
	v_fma_f64 v[82:83], v[80:81], s[4:5], v[116:117]
	;; [unrolled: 1-line block ×3, first 2 shown]
	v_add_co_u32 v170, vcc_lo, 0x1000, v150
	v_fma_f64 v[36:37], v[84:85], s[4:5], v[138:139]
	v_add_co_ci_u32_e32 v171, vcc_lo, 0, v151, vcc_lo
	v_add_co_u32 v84, vcc_lo, 0x2800, v150
	v_add_co_ci_u32_e32 v85, vcc_lo, 0, v151, vcc_lo
	global_store_dwordx4 v[140:141], v[24:27], off
	global_store_dwordx4 v[140:141], v[0:3], off offset:832
	global_store_dwordx4 v[140:141], v[4:7], off offset:1664
	;; [unrolled: 1-line block ×8, first 2 shown]
	global_store_dwordx4 v[142:143], v[52:55], off
	global_store_dwordx4 v[158:159], v[48:51], off offset:128
	global_store_dwordx4 v[152:153], v[44:47], off offset:1856
	global_store_dwordx4 v[156:157], v[8:11], off
	global_store_dwordx4 v[162:163], v[76:79], off offset:1728
	global_store_dwordx4 v[164:165], v[40:43], off offset:1408
	;; [unrolled: 3-line block ×4, first 2 shown]
.LBB0_35:
	s_endpgm
	.section	.rodata,"a",@progbits
	.p2align	6, 0x0
	.amdhsa_kernel fft_rtc_back_len1092_factors_2_2_13_7_3_wgs_52_tpt_52_halfLds_dp_ip_CI_unitstride_sbrr_dirReg
		.amdhsa_group_segment_fixed_size 0
		.amdhsa_private_segment_fixed_size 12
		.amdhsa_kernarg_size 88
		.amdhsa_user_sgpr_count 6
		.amdhsa_user_sgpr_private_segment_buffer 1
		.amdhsa_user_sgpr_dispatch_ptr 0
		.amdhsa_user_sgpr_queue_ptr 0
		.amdhsa_user_sgpr_kernarg_segment_ptr 1
		.amdhsa_user_sgpr_dispatch_id 0
		.amdhsa_user_sgpr_flat_scratch_init 0
		.amdhsa_user_sgpr_private_segment_size 0
		.amdhsa_wavefront_size32 1
		.amdhsa_uses_dynamic_stack 0
		.amdhsa_system_sgpr_private_segment_wavefront_offset 1
		.amdhsa_system_sgpr_workgroup_id_x 1
		.amdhsa_system_sgpr_workgroup_id_y 0
		.amdhsa_system_sgpr_workgroup_id_z 0
		.amdhsa_system_sgpr_workgroup_info 0
		.amdhsa_system_vgpr_workitem_id 0
		.amdhsa_next_free_vgpr 256
		.amdhsa_next_free_sgpr 48
		.amdhsa_reserve_vcc 1
		.amdhsa_reserve_flat_scratch 0
		.amdhsa_float_round_mode_32 0
		.amdhsa_float_round_mode_16_64 0
		.amdhsa_float_denorm_mode_32 3
		.amdhsa_float_denorm_mode_16_64 3
		.amdhsa_dx10_clamp 1
		.amdhsa_ieee_mode 1
		.amdhsa_fp16_overflow 0
		.amdhsa_workgroup_processor_mode 1
		.amdhsa_memory_ordered 1
		.amdhsa_forward_progress 0
		.amdhsa_shared_vgpr_count 0
		.amdhsa_exception_fp_ieee_invalid_op 0
		.amdhsa_exception_fp_denorm_src 0
		.amdhsa_exception_fp_ieee_div_zero 0
		.amdhsa_exception_fp_ieee_overflow 0
		.amdhsa_exception_fp_ieee_underflow 0
		.amdhsa_exception_fp_ieee_inexact 0
		.amdhsa_exception_int_div_zero 0
	.end_amdhsa_kernel
	.text
.Lfunc_end0:
	.size	fft_rtc_back_len1092_factors_2_2_13_7_3_wgs_52_tpt_52_halfLds_dp_ip_CI_unitstride_sbrr_dirReg, .Lfunc_end0-fft_rtc_back_len1092_factors_2_2_13_7_3_wgs_52_tpt_52_halfLds_dp_ip_CI_unitstride_sbrr_dirReg
                                        ; -- End function
	.section	.AMDGPU.csdata,"",@progbits
; Kernel info:
; codeLenInByte = 18600
; NumSgprs: 50
; NumVgprs: 256
; ScratchSize: 12
; MemoryBound: 1
; FloatMode: 240
; IeeeMode: 1
; LDSByteSize: 0 bytes/workgroup (compile time only)
; SGPRBlocks: 6
; VGPRBlocks: 31
; NumSGPRsForWavesPerEU: 50
; NumVGPRsForWavesPerEU: 256
; Occupancy: 4
; WaveLimiterHint : 1
; COMPUTE_PGM_RSRC2:SCRATCH_EN: 1
; COMPUTE_PGM_RSRC2:USER_SGPR: 6
; COMPUTE_PGM_RSRC2:TRAP_HANDLER: 0
; COMPUTE_PGM_RSRC2:TGID_X_EN: 1
; COMPUTE_PGM_RSRC2:TGID_Y_EN: 0
; COMPUTE_PGM_RSRC2:TGID_Z_EN: 0
; COMPUTE_PGM_RSRC2:TIDIG_COMP_CNT: 0
	.text
	.p2alignl 6, 3214868480
	.fill 48, 4, 3214868480
	.type	__hip_cuid_8cd3e64d42bc77ab,@object ; @__hip_cuid_8cd3e64d42bc77ab
	.section	.bss,"aw",@nobits
	.globl	__hip_cuid_8cd3e64d42bc77ab
__hip_cuid_8cd3e64d42bc77ab:
	.byte	0                               ; 0x0
	.size	__hip_cuid_8cd3e64d42bc77ab, 1

	.ident	"AMD clang version 19.0.0git (https://github.com/RadeonOpenCompute/llvm-project roc-6.4.0 25133 c7fe45cf4b819c5991fe208aaa96edf142730f1d)"
	.section	".note.GNU-stack","",@progbits
	.addrsig
	.addrsig_sym __hip_cuid_8cd3e64d42bc77ab
	.amdgpu_metadata
---
amdhsa.kernels:
  - .args:
      - .actual_access:  read_only
        .address_space:  global
        .offset:         0
        .size:           8
        .value_kind:     global_buffer
      - .offset:         8
        .size:           8
        .value_kind:     by_value
      - .actual_access:  read_only
        .address_space:  global
        .offset:         16
        .size:           8
        .value_kind:     global_buffer
      - .actual_access:  read_only
        .address_space:  global
        .offset:         24
        .size:           8
        .value_kind:     global_buffer
      - .offset:         32
        .size:           8
        .value_kind:     by_value
      - .actual_access:  read_only
        .address_space:  global
        .offset:         40
        .size:           8
        .value_kind:     global_buffer
      - .actual_access:  read_only
        .address_space:  global
        .offset:         48
        .size:           8
        .value_kind:     global_buffer
      - .offset:         56
        .size:           4
        .value_kind:     by_value
      - .actual_access:  read_only
        .address_space:  global
        .offset:         64
        .size:           8
        .value_kind:     global_buffer
      - .actual_access:  read_only
        .address_space:  global
        .offset:         72
        .size:           8
        .value_kind:     global_buffer
      - .address_space:  global
        .offset:         80
        .size:           8
        .value_kind:     global_buffer
    .group_segment_fixed_size: 0
    .kernarg_segment_align: 8
    .kernarg_segment_size: 88
    .language:       OpenCL C
    .language_version:
      - 2
      - 0
    .max_flat_workgroup_size: 52
    .name:           fft_rtc_back_len1092_factors_2_2_13_7_3_wgs_52_tpt_52_halfLds_dp_ip_CI_unitstride_sbrr_dirReg
    .private_segment_fixed_size: 12
    .sgpr_count:     50
    .sgpr_spill_count: 0
    .symbol:         fft_rtc_back_len1092_factors_2_2_13_7_3_wgs_52_tpt_52_halfLds_dp_ip_CI_unitstride_sbrr_dirReg.kd
    .uniform_work_group_size: 1
    .uses_dynamic_stack: false
    .vgpr_count:     256
    .vgpr_spill_count: 2
    .wavefront_size: 32
    .workgroup_processor_mode: 1
amdhsa.target:   amdgcn-amd-amdhsa--gfx1030
amdhsa.version:
  - 1
  - 2
...

	.end_amdgpu_metadata
